;; amdgpu-corpus repo=ROCm/vllm kind=compiled arch=gfx90a opt=O3
	.text
	.amdgcn_target "amdgcn-amd-amdhsa--gfx90a"
	.amdhsa_code_object_version 6
	.section	.text._ZN4vllm18copy_blocks_kernelIfEEvPlS1_PKli,"axG",@progbits,_ZN4vllm18copy_blocks_kernelIfEEvPlS1_PKli,comdat
	.protected	_ZN4vllm18copy_blocks_kernelIfEEvPlS1_PKli ; -- Begin function _ZN4vllm18copy_blocks_kernelIfEEvPlS1_PKli
	.globl	_ZN4vllm18copy_blocks_kernelIfEEvPlS1_PKli
	.p2align	8
	.type	_ZN4vllm18copy_blocks_kernelIfEEvPlS1_PKli,@function
_ZN4vllm18copy_blocks_kernelIfEEvPlS1_PKli: ; @_ZN4vllm18copy_blocks_kernelIfEEvPlS1_PKli
; %bb.0:
	s_load_dword s8, s[4:5], 0x18
	s_waitcnt lgkmcnt(0)
	v_cmp_gt_i32_e32 vcc, s8, v0
	s_and_saveexec_b64 s[2:3], vcc
	s_cbranch_execz .LBB0_5
; %bb.1:
	s_load_dwordx4 s[12:15], s[4:5], 0x0
	s_load_dwordx2 s[2:3], s[4:5], 0x10
	s_mov_b32 s0, s7
	s_ashr_i32 s7, s6, 31
	s_lshl_b64 s[6:7], s[6:7], 3
	s_waitcnt lgkmcnt(0)
	s_add_u32 s10, s14, s6
	s_addc_u32 s11, s15, s7
	s_lshl_b32 s0, s0, 1
	s_ashr_i32 s1, s0, 31
	s_lshl_b64 s[0:1], s[0:1], 3
	s_add_u32 s0, s2, s0
	s_addc_u32 s1, s3, s1
	s_load_dwordx4 s[16:19], s[0:1], 0x0
	s_ashr_i32 s0, s8, 31
	v_mov_b32_e32 v2, v0
	s_waitcnt lgkmcnt(0)
	s_mul_i32 s1, s16, s0
	s_mul_hi_u32 s2, s16, s8
	s_mul_i32 s3, s17, s8
	s_add_i32 s1, s2, s1
	s_mul_i32 s0, s18, s0
	s_add_i32 s3, s1, s3
	s_mul_hi_u32 s1, s18, s8
	s_add_i32 s0, s1, s0
	s_mul_i32 s1, s19, s8
	s_add_i32 s15, s0, s1
	s_add_u32 s6, s12, s6
	s_addc_u32 s7, s13, s7
	s_load_dwordx2 s[12:13], s[6:7], 0x0
	s_load_dwordx2 s[0:1], s[10:11], 0x0
	s_mul_i32 s2, s16, s8
	s_lshl_b64 s[2:3], s[2:3], 2
	s_load_dword s6, s[4:5], 0x2c
	s_mul_i32 s14, s18, s8
	s_waitcnt lgkmcnt(0)
	s_add_u32 s10, s12, s2
	s_addc_u32 s16, s13, s3
	s_lshl_b64 s[4:5], s[14:15], 2
	s_add_u32 s11, s12, s4
	s_addc_u32 s12, s13, s5
	s_and_b32 s9, s6, 0xffff
	s_mov_b64 s[6:7], 0
	v_mov_b32_e32 v1, s16
	v_mov_b32_e32 v4, s12
.LBB0_2:                                ; =>This Inner Loop Header: Depth=1
	v_ashrrev_i32_e32 v3, 31, v2
	v_lshlrev_b64 v[6:7], 2, v[2:3]
	v_add_co_u32_e32 v8, vcc, s10, v6
	v_addc_co_u32_e32 v9, vcc, v1, v7, vcc
	flat_load_dword v3, v[8:9]
	v_add_co_u32_e32 v6, vcc, s11, v6
	v_addc_co_u32_e32 v7, vcc, v4, v7, vcc
	v_add_u32_e32 v2, s9, v2
	v_cmp_le_i32_e32 vcc, s8, v2
	s_or_b64 s[6:7], vcc, s[6:7]
	s_waitcnt vmcnt(0) lgkmcnt(0)
	flat_store_dword v[6:7], v3
	s_andn2_b64 exec, exec, s[6:7]
	s_cbranch_execnz .LBB0_2
; %bb.3:
	s_or_b64 exec, exec, s[6:7]
	s_add_u32 s2, s0, s2
	s_addc_u32 s6, s1, s3
	s_add_u32 s3, s0, s4
	s_addc_u32 s4, s1, s5
	s_mov_b64 s[0:1], 0
	v_mov_b32_e32 v2, s6
	v_mov_b32_e32 v3, s4
.LBB0_4:                                ; =>This Inner Loop Header: Depth=1
	v_ashrrev_i32_e32 v1, 31, v0
	v_lshlrev_b64 v[4:5], 2, v[0:1]
	v_add_co_u32_e32 v6, vcc, s2, v4
	v_addc_co_u32_e32 v7, vcc, v2, v5, vcc
	flat_load_dword v1, v[6:7]
	v_add_co_u32_e32 v4, vcc, s3, v4
	v_addc_co_u32_e32 v5, vcc, v3, v5, vcc
	v_add_u32_e32 v0, s9, v0
	v_cmp_le_i32_e32 vcc, s8, v0
	s_or_b64 s[0:1], vcc, s[0:1]
	s_waitcnt vmcnt(0) lgkmcnt(0)
	flat_store_dword v[4:5], v1
	s_andn2_b64 exec, exec, s[0:1]
	s_cbranch_execnz .LBB0_4
.LBB0_5:
	s_endpgm
	.section	.rodata,"a",@progbits
	.p2align	6, 0x0
	.amdhsa_kernel _ZN4vllm18copy_blocks_kernelIfEEvPlS1_PKli
		.amdhsa_group_segment_fixed_size 0
		.amdhsa_private_segment_fixed_size 0
		.amdhsa_kernarg_size 288
		.amdhsa_user_sgpr_count 6
		.amdhsa_user_sgpr_private_segment_buffer 1
		.amdhsa_user_sgpr_dispatch_ptr 0
		.amdhsa_user_sgpr_queue_ptr 0
		.amdhsa_user_sgpr_kernarg_segment_ptr 1
		.amdhsa_user_sgpr_dispatch_id 0
		.amdhsa_user_sgpr_flat_scratch_init 0
		.amdhsa_user_sgpr_kernarg_preload_length 0
		.amdhsa_user_sgpr_kernarg_preload_offset 0
		.amdhsa_user_sgpr_private_segment_size 0
		.amdhsa_uses_dynamic_stack 0
		.amdhsa_system_sgpr_private_segment_wavefront_offset 0
		.amdhsa_system_sgpr_workgroup_id_x 1
		.amdhsa_system_sgpr_workgroup_id_y 1
		.amdhsa_system_sgpr_workgroup_id_z 0
		.amdhsa_system_sgpr_workgroup_info 0
		.amdhsa_system_vgpr_workitem_id 0
		.amdhsa_next_free_vgpr 10
		.amdhsa_next_free_sgpr 20
		.amdhsa_accum_offset 12
		.amdhsa_reserve_vcc 1
		.amdhsa_reserve_flat_scratch 0
		.amdhsa_float_round_mode_32 0
		.amdhsa_float_round_mode_16_64 0
		.amdhsa_float_denorm_mode_32 3
		.amdhsa_float_denorm_mode_16_64 3
		.amdhsa_dx10_clamp 1
		.amdhsa_ieee_mode 1
		.amdhsa_fp16_overflow 0
		.amdhsa_tg_split 0
		.amdhsa_exception_fp_ieee_invalid_op 0
		.amdhsa_exception_fp_denorm_src 0
		.amdhsa_exception_fp_ieee_div_zero 0
		.amdhsa_exception_fp_ieee_overflow 0
		.amdhsa_exception_fp_ieee_underflow 0
		.amdhsa_exception_fp_ieee_inexact 0
		.amdhsa_exception_int_div_zero 0
	.end_amdhsa_kernel
	.section	.text._ZN4vllm18copy_blocks_kernelIfEEvPlS1_PKli,"axG",@progbits,_ZN4vllm18copy_blocks_kernelIfEEvPlS1_PKli,comdat
.Lfunc_end0:
	.size	_ZN4vllm18copy_blocks_kernelIfEEvPlS1_PKli, .Lfunc_end0-_ZN4vllm18copy_blocks_kernelIfEEvPlS1_PKli
                                        ; -- End function
	.section	.AMDGPU.csdata,"",@progbits
; Kernel info:
; codeLenInByte = 404
; NumSgprs: 24
; NumVgprs: 10
; NumAgprs: 0
; TotalNumVgprs: 10
; ScratchSize: 0
; MemoryBound: 0
; FloatMode: 240
; IeeeMode: 1
; LDSByteSize: 0 bytes/workgroup (compile time only)
; SGPRBlocks: 2
; VGPRBlocks: 1
; NumSGPRsForWavesPerEU: 24
; NumVGPRsForWavesPerEU: 10
; AccumOffset: 12
; Occupancy: 8
; WaveLimiterHint : 1
; COMPUTE_PGM_RSRC2:SCRATCH_EN: 0
; COMPUTE_PGM_RSRC2:USER_SGPR: 6
; COMPUTE_PGM_RSRC2:TRAP_HANDLER: 0
; COMPUTE_PGM_RSRC2:TGID_X_EN: 1
; COMPUTE_PGM_RSRC2:TGID_Y_EN: 1
; COMPUTE_PGM_RSRC2:TGID_Z_EN: 0
; COMPUTE_PGM_RSRC2:TIDIG_COMP_CNT: 0
; COMPUTE_PGM_RSRC3_GFX90A:ACCUM_OFFSET: 2
; COMPUTE_PGM_RSRC3_GFX90A:TG_SPLIT: 0
	.section	.text._ZN4vllm18copy_blocks_kernelIN3c104HalfEEEvPlS3_PKli,"axG",@progbits,_ZN4vllm18copy_blocks_kernelIN3c104HalfEEEvPlS3_PKli,comdat
	.protected	_ZN4vllm18copy_blocks_kernelIN3c104HalfEEEvPlS3_PKli ; -- Begin function _ZN4vllm18copy_blocks_kernelIN3c104HalfEEEvPlS3_PKli
	.globl	_ZN4vllm18copy_blocks_kernelIN3c104HalfEEEvPlS3_PKli
	.p2align	8
	.type	_ZN4vllm18copy_blocks_kernelIN3c104HalfEEEvPlS3_PKli,@function
_ZN4vllm18copy_blocks_kernelIN3c104HalfEEEvPlS3_PKli: ; @_ZN4vllm18copy_blocks_kernelIN3c104HalfEEEvPlS3_PKli
; %bb.0:
	s_load_dword s8, s[4:5], 0x18
	s_waitcnt lgkmcnt(0)
	v_cmp_gt_i32_e32 vcc, s8, v0
	s_and_saveexec_b64 s[2:3], vcc
	s_cbranch_execz .LBB1_5
; %bb.1:
	s_load_dwordx4 s[12:15], s[4:5], 0x0
	s_load_dwordx2 s[2:3], s[4:5], 0x10
	s_mov_b32 s0, s7
	s_ashr_i32 s7, s6, 31
	s_lshl_b64 s[6:7], s[6:7], 3
	s_waitcnt lgkmcnt(0)
	s_add_u32 s10, s14, s6
	s_addc_u32 s11, s15, s7
	s_lshl_b32 s0, s0, 1
	s_ashr_i32 s1, s0, 31
	s_lshl_b64 s[0:1], s[0:1], 3
	s_add_u32 s0, s2, s0
	s_addc_u32 s1, s3, s1
	s_load_dwordx4 s[16:19], s[0:1], 0x0
	s_ashr_i32 s0, s8, 31
	v_mov_b32_e32 v2, v0
	s_waitcnt lgkmcnt(0)
	s_mul_i32 s1, s16, s0
	s_mul_hi_u32 s2, s16, s8
	s_mul_i32 s3, s17, s8
	s_add_i32 s1, s2, s1
	s_mul_i32 s0, s18, s0
	s_add_i32 s3, s1, s3
	s_mul_hi_u32 s1, s18, s8
	s_add_i32 s0, s1, s0
	s_mul_i32 s1, s19, s8
	s_add_i32 s15, s0, s1
	s_add_u32 s6, s12, s6
	s_addc_u32 s7, s13, s7
	s_load_dwordx2 s[12:13], s[6:7], 0x0
	s_load_dwordx2 s[0:1], s[10:11], 0x0
	s_mul_i32 s2, s16, s8
	s_lshl_b64 s[2:3], s[2:3], 1
	s_load_dword s6, s[4:5], 0x2c
	s_mul_i32 s14, s18, s8
	s_waitcnt lgkmcnt(0)
	s_add_u32 s10, s12, s2
	s_addc_u32 s16, s13, s3
	s_lshl_b64 s[4:5], s[14:15], 1
	s_add_u32 s11, s12, s4
	s_addc_u32 s12, s13, s5
	s_and_b32 s9, s6, 0xffff
	s_mov_b64 s[6:7], 0
	v_mov_b32_e32 v1, s16
	v_mov_b32_e32 v4, s12
.LBB1_2:                                ; =>This Inner Loop Header: Depth=1
	v_ashrrev_i32_e32 v3, 31, v2
	v_lshlrev_b64 v[6:7], 1, v[2:3]
	v_add_co_u32_e32 v8, vcc, s10, v6
	v_addc_co_u32_e32 v9, vcc, v1, v7, vcc
	flat_load_ushort v3, v[8:9]
	v_add_co_u32_e32 v6, vcc, s11, v6
	v_addc_co_u32_e32 v7, vcc, v4, v7, vcc
	v_add_u32_e32 v2, s9, v2
	v_cmp_le_i32_e32 vcc, s8, v2
	s_or_b64 s[6:7], vcc, s[6:7]
	s_waitcnt vmcnt(0) lgkmcnt(0)
	flat_store_short v[6:7], v3
	s_andn2_b64 exec, exec, s[6:7]
	s_cbranch_execnz .LBB1_2
; %bb.3:
	s_or_b64 exec, exec, s[6:7]
	s_add_u32 s2, s0, s2
	s_addc_u32 s6, s1, s3
	s_add_u32 s3, s0, s4
	s_addc_u32 s4, s1, s5
	s_mov_b64 s[0:1], 0
	v_mov_b32_e32 v2, s6
	v_mov_b32_e32 v3, s4
.LBB1_4:                                ; =>This Inner Loop Header: Depth=1
	v_ashrrev_i32_e32 v1, 31, v0
	v_lshlrev_b64 v[4:5], 1, v[0:1]
	v_add_co_u32_e32 v6, vcc, s2, v4
	v_addc_co_u32_e32 v7, vcc, v2, v5, vcc
	flat_load_ushort v1, v[6:7]
	v_add_co_u32_e32 v4, vcc, s3, v4
	v_addc_co_u32_e32 v5, vcc, v3, v5, vcc
	v_add_u32_e32 v0, s9, v0
	v_cmp_le_i32_e32 vcc, s8, v0
	s_or_b64 s[0:1], vcc, s[0:1]
	s_waitcnt vmcnt(0) lgkmcnt(0)
	flat_store_short v[4:5], v1
	s_andn2_b64 exec, exec, s[0:1]
	s_cbranch_execnz .LBB1_4
.LBB1_5:
	s_endpgm
	.section	.rodata,"a",@progbits
	.p2align	6, 0x0
	.amdhsa_kernel _ZN4vllm18copy_blocks_kernelIN3c104HalfEEEvPlS3_PKli
		.amdhsa_group_segment_fixed_size 0
		.amdhsa_private_segment_fixed_size 0
		.amdhsa_kernarg_size 288
		.amdhsa_user_sgpr_count 6
		.amdhsa_user_sgpr_private_segment_buffer 1
		.amdhsa_user_sgpr_dispatch_ptr 0
		.amdhsa_user_sgpr_queue_ptr 0
		.amdhsa_user_sgpr_kernarg_segment_ptr 1
		.amdhsa_user_sgpr_dispatch_id 0
		.amdhsa_user_sgpr_flat_scratch_init 0
		.amdhsa_user_sgpr_kernarg_preload_length 0
		.amdhsa_user_sgpr_kernarg_preload_offset 0
		.amdhsa_user_sgpr_private_segment_size 0
		.amdhsa_uses_dynamic_stack 0
		.amdhsa_system_sgpr_private_segment_wavefront_offset 0
		.amdhsa_system_sgpr_workgroup_id_x 1
		.amdhsa_system_sgpr_workgroup_id_y 1
		.amdhsa_system_sgpr_workgroup_id_z 0
		.amdhsa_system_sgpr_workgroup_info 0
		.amdhsa_system_vgpr_workitem_id 0
		.amdhsa_next_free_vgpr 10
		.amdhsa_next_free_sgpr 20
		.amdhsa_accum_offset 12
		.amdhsa_reserve_vcc 1
		.amdhsa_reserve_flat_scratch 0
		.amdhsa_float_round_mode_32 0
		.amdhsa_float_round_mode_16_64 0
		.amdhsa_float_denorm_mode_32 3
		.amdhsa_float_denorm_mode_16_64 3
		.amdhsa_dx10_clamp 1
		.amdhsa_ieee_mode 1
		.amdhsa_fp16_overflow 0
		.amdhsa_tg_split 0
		.amdhsa_exception_fp_ieee_invalid_op 0
		.amdhsa_exception_fp_denorm_src 0
		.amdhsa_exception_fp_ieee_div_zero 0
		.amdhsa_exception_fp_ieee_overflow 0
		.amdhsa_exception_fp_ieee_underflow 0
		.amdhsa_exception_fp_ieee_inexact 0
		.amdhsa_exception_int_div_zero 0
	.end_amdhsa_kernel
	.section	.text._ZN4vllm18copy_blocks_kernelIN3c104HalfEEEvPlS3_PKli,"axG",@progbits,_ZN4vllm18copy_blocks_kernelIN3c104HalfEEEvPlS3_PKli,comdat
.Lfunc_end1:
	.size	_ZN4vllm18copy_blocks_kernelIN3c104HalfEEEvPlS3_PKli, .Lfunc_end1-_ZN4vllm18copy_blocks_kernelIN3c104HalfEEEvPlS3_PKli
                                        ; -- End function
	.section	.AMDGPU.csdata,"",@progbits
; Kernel info:
; codeLenInByte = 404
; NumSgprs: 24
; NumVgprs: 10
; NumAgprs: 0
; TotalNumVgprs: 10
; ScratchSize: 0
; MemoryBound: 0
; FloatMode: 240
; IeeeMode: 1
; LDSByteSize: 0 bytes/workgroup (compile time only)
; SGPRBlocks: 2
; VGPRBlocks: 1
; NumSGPRsForWavesPerEU: 24
; NumVGPRsForWavesPerEU: 10
; AccumOffset: 12
; Occupancy: 8
; WaveLimiterHint : 1
; COMPUTE_PGM_RSRC2:SCRATCH_EN: 0
; COMPUTE_PGM_RSRC2:USER_SGPR: 6
; COMPUTE_PGM_RSRC2:TRAP_HANDLER: 0
; COMPUTE_PGM_RSRC2:TGID_X_EN: 1
; COMPUTE_PGM_RSRC2:TGID_Y_EN: 1
; COMPUTE_PGM_RSRC2:TGID_Z_EN: 0
; COMPUTE_PGM_RSRC2:TIDIG_COMP_CNT: 0
; COMPUTE_PGM_RSRC3_GFX90A:ACCUM_OFFSET: 2
; COMPUTE_PGM_RSRC3_GFX90A:TG_SPLIT: 0
	.section	.text._ZN4vllm18copy_blocks_kernelIN3c108BFloat16EEEvPlS3_PKli,"axG",@progbits,_ZN4vllm18copy_blocks_kernelIN3c108BFloat16EEEvPlS3_PKli,comdat
	.protected	_ZN4vllm18copy_blocks_kernelIN3c108BFloat16EEEvPlS3_PKli ; -- Begin function _ZN4vllm18copy_blocks_kernelIN3c108BFloat16EEEvPlS3_PKli
	.globl	_ZN4vllm18copy_blocks_kernelIN3c108BFloat16EEEvPlS3_PKli
	.p2align	8
	.type	_ZN4vllm18copy_blocks_kernelIN3c108BFloat16EEEvPlS3_PKli,@function
_ZN4vllm18copy_blocks_kernelIN3c108BFloat16EEEvPlS3_PKli: ; @_ZN4vllm18copy_blocks_kernelIN3c108BFloat16EEEvPlS3_PKli
; %bb.0:
	s_load_dword s8, s[4:5], 0x18
	s_waitcnt lgkmcnt(0)
	v_cmp_gt_i32_e32 vcc, s8, v0
	s_and_saveexec_b64 s[2:3], vcc
	s_cbranch_execz .LBB2_5
; %bb.1:
	s_load_dwordx4 s[12:15], s[4:5], 0x0
	s_load_dwordx2 s[2:3], s[4:5], 0x10
	s_mov_b32 s0, s7
	s_ashr_i32 s7, s6, 31
	s_lshl_b64 s[6:7], s[6:7], 3
	s_waitcnt lgkmcnt(0)
	s_add_u32 s10, s14, s6
	s_addc_u32 s11, s15, s7
	s_lshl_b32 s0, s0, 1
	s_ashr_i32 s1, s0, 31
	s_lshl_b64 s[0:1], s[0:1], 3
	s_add_u32 s0, s2, s0
	s_addc_u32 s1, s3, s1
	s_load_dwordx4 s[16:19], s[0:1], 0x0
	s_ashr_i32 s0, s8, 31
	v_mov_b32_e32 v2, v0
	s_waitcnt lgkmcnt(0)
	s_mul_i32 s1, s16, s0
	s_mul_hi_u32 s2, s16, s8
	s_mul_i32 s3, s17, s8
	s_add_i32 s1, s2, s1
	s_mul_i32 s0, s18, s0
	s_add_i32 s3, s1, s3
	s_mul_hi_u32 s1, s18, s8
	s_add_i32 s0, s1, s0
	s_mul_i32 s1, s19, s8
	s_add_i32 s15, s0, s1
	s_add_u32 s6, s12, s6
	s_addc_u32 s7, s13, s7
	s_load_dwordx2 s[12:13], s[6:7], 0x0
	s_load_dwordx2 s[0:1], s[10:11], 0x0
	s_mul_i32 s2, s16, s8
	s_lshl_b64 s[2:3], s[2:3], 1
	s_load_dword s6, s[4:5], 0x2c
	s_mul_i32 s14, s18, s8
	s_waitcnt lgkmcnt(0)
	s_add_u32 s10, s12, s2
	s_addc_u32 s16, s13, s3
	s_lshl_b64 s[4:5], s[14:15], 1
	s_add_u32 s11, s12, s4
	s_addc_u32 s12, s13, s5
	s_and_b32 s9, s6, 0xffff
	s_mov_b64 s[6:7], 0
	v_mov_b32_e32 v1, s16
	v_mov_b32_e32 v4, s12
.LBB2_2:                                ; =>This Inner Loop Header: Depth=1
	v_ashrrev_i32_e32 v3, 31, v2
	v_lshlrev_b64 v[6:7], 1, v[2:3]
	v_add_co_u32_e32 v8, vcc, s10, v6
	v_addc_co_u32_e32 v9, vcc, v1, v7, vcc
	flat_load_ushort v3, v[8:9]
	v_add_co_u32_e32 v6, vcc, s11, v6
	v_addc_co_u32_e32 v7, vcc, v4, v7, vcc
	v_add_u32_e32 v2, s9, v2
	v_cmp_le_i32_e32 vcc, s8, v2
	s_or_b64 s[6:7], vcc, s[6:7]
	s_waitcnt vmcnt(0) lgkmcnt(0)
	flat_store_short v[6:7], v3
	s_andn2_b64 exec, exec, s[6:7]
	s_cbranch_execnz .LBB2_2
; %bb.3:
	s_or_b64 exec, exec, s[6:7]
	s_add_u32 s2, s0, s2
	s_addc_u32 s6, s1, s3
	s_add_u32 s3, s0, s4
	s_addc_u32 s4, s1, s5
	s_mov_b64 s[0:1], 0
	v_mov_b32_e32 v2, s6
	v_mov_b32_e32 v3, s4
.LBB2_4:                                ; =>This Inner Loop Header: Depth=1
	v_ashrrev_i32_e32 v1, 31, v0
	v_lshlrev_b64 v[4:5], 1, v[0:1]
	v_add_co_u32_e32 v6, vcc, s2, v4
	v_addc_co_u32_e32 v7, vcc, v2, v5, vcc
	flat_load_ushort v1, v[6:7]
	v_add_co_u32_e32 v4, vcc, s3, v4
	v_addc_co_u32_e32 v5, vcc, v3, v5, vcc
	v_add_u32_e32 v0, s9, v0
	v_cmp_le_i32_e32 vcc, s8, v0
	s_or_b64 s[0:1], vcc, s[0:1]
	s_waitcnt vmcnt(0) lgkmcnt(0)
	flat_store_short v[4:5], v1
	s_andn2_b64 exec, exec, s[0:1]
	s_cbranch_execnz .LBB2_4
.LBB2_5:
	s_endpgm
	.section	.rodata,"a",@progbits
	.p2align	6, 0x0
	.amdhsa_kernel _ZN4vllm18copy_blocks_kernelIN3c108BFloat16EEEvPlS3_PKli
		.amdhsa_group_segment_fixed_size 0
		.amdhsa_private_segment_fixed_size 0
		.amdhsa_kernarg_size 288
		.amdhsa_user_sgpr_count 6
		.amdhsa_user_sgpr_private_segment_buffer 1
		.amdhsa_user_sgpr_dispatch_ptr 0
		.amdhsa_user_sgpr_queue_ptr 0
		.amdhsa_user_sgpr_kernarg_segment_ptr 1
		.amdhsa_user_sgpr_dispatch_id 0
		.amdhsa_user_sgpr_flat_scratch_init 0
		.amdhsa_user_sgpr_kernarg_preload_length 0
		.amdhsa_user_sgpr_kernarg_preload_offset 0
		.amdhsa_user_sgpr_private_segment_size 0
		.amdhsa_uses_dynamic_stack 0
		.amdhsa_system_sgpr_private_segment_wavefront_offset 0
		.amdhsa_system_sgpr_workgroup_id_x 1
		.amdhsa_system_sgpr_workgroup_id_y 1
		.amdhsa_system_sgpr_workgroup_id_z 0
		.amdhsa_system_sgpr_workgroup_info 0
		.amdhsa_system_vgpr_workitem_id 0
		.amdhsa_next_free_vgpr 10
		.amdhsa_next_free_sgpr 20
		.amdhsa_accum_offset 12
		.amdhsa_reserve_vcc 1
		.amdhsa_reserve_flat_scratch 0
		.amdhsa_float_round_mode_32 0
		.amdhsa_float_round_mode_16_64 0
		.amdhsa_float_denorm_mode_32 3
		.amdhsa_float_denorm_mode_16_64 3
		.amdhsa_dx10_clamp 1
		.amdhsa_ieee_mode 1
		.amdhsa_fp16_overflow 0
		.amdhsa_tg_split 0
		.amdhsa_exception_fp_ieee_invalid_op 0
		.amdhsa_exception_fp_denorm_src 0
		.amdhsa_exception_fp_ieee_div_zero 0
		.amdhsa_exception_fp_ieee_overflow 0
		.amdhsa_exception_fp_ieee_underflow 0
		.amdhsa_exception_fp_ieee_inexact 0
		.amdhsa_exception_int_div_zero 0
	.end_amdhsa_kernel
	.section	.text._ZN4vllm18copy_blocks_kernelIN3c108BFloat16EEEvPlS3_PKli,"axG",@progbits,_ZN4vllm18copy_blocks_kernelIN3c108BFloat16EEEvPlS3_PKli,comdat
.Lfunc_end2:
	.size	_ZN4vllm18copy_blocks_kernelIN3c108BFloat16EEEvPlS3_PKli, .Lfunc_end2-_ZN4vllm18copy_blocks_kernelIN3c108BFloat16EEEvPlS3_PKli
                                        ; -- End function
	.section	.AMDGPU.csdata,"",@progbits
; Kernel info:
; codeLenInByte = 404
; NumSgprs: 24
; NumVgprs: 10
; NumAgprs: 0
; TotalNumVgprs: 10
; ScratchSize: 0
; MemoryBound: 0
; FloatMode: 240
; IeeeMode: 1
; LDSByteSize: 0 bytes/workgroup (compile time only)
; SGPRBlocks: 2
; VGPRBlocks: 1
; NumSGPRsForWavesPerEU: 24
; NumVGPRsForWavesPerEU: 10
; AccumOffset: 12
; Occupancy: 8
; WaveLimiterHint : 1
; COMPUTE_PGM_RSRC2:SCRATCH_EN: 0
; COMPUTE_PGM_RSRC2:USER_SGPR: 6
; COMPUTE_PGM_RSRC2:TRAP_HANDLER: 0
; COMPUTE_PGM_RSRC2:TGID_X_EN: 1
; COMPUTE_PGM_RSRC2:TGID_Y_EN: 1
; COMPUTE_PGM_RSRC2:TGID_Z_EN: 0
; COMPUTE_PGM_RSRC2:TIDIG_COMP_CNT: 0
; COMPUTE_PGM_RSRC3_GFX90A:ACCUM_OFFSET: 2
; COMPUTE_PGM_RSRC3_GFX90A:TG_SPLIT: 0
	.section	.text._ZN4vllm18copy_blocks_kernelIhEEvPlS1_PKli,"axG",@progbits,_ZN4vllm18copy_blocks_kernelIhEEvPlS1_PKli,comdat
	.protected	_ZN4vllm18copy_blocks_kernelIhEEvPlS1_PKli ; -- Begin function _ZN4vllm18copy_blocks_kernelIhEEvPlS1_PKli
	.globl	_ZN4vllm18copy_blocks_kernelIhEEvPlS1_PKli
	.p2align	8
	.type	_ZN4vllm18copy_blocks_kernelIhEEvPlS1_PKli,@function
_ZN4vllm18copy_blocks_kernelIhEEvPlS1_PKli: ; @_ZN4vllm18copy_blocks_kernelIhEEvPlS1_PKli
; %bb.0:
	s_load_dword s8, s[4:5], 0x18
	s_waitcnt lgkmcnt(0)
	v_cmp_gt_i32_e32 vcc, s8, v0
	s_and_saveexec_b64 s[2:3], vcc
	s_cbranch_execz .LBB3_5
; %bb.1:
	s_load_dwordx4 s[12:15], s[4:5], 0x0
	s_load_dwordx2 s[2:3], s[4:5], 0x10
	s_mov_b32 s0, s7
	s_ashr_i32 s7, s6, 31
	s_lshl_b64 s[10:11], s[6:7], 3
	s_waitcnt lgkmcnt(0)
	s_add_u32 s14, s14, s10
	s_addc_u32 s15, s15, s11
	s_lshl_b32 s0, s0, 1
	s_ashr_i32 s1, s0, 31
	s_lshl_b64 s[0:1], s[0:1], 3
	s_add_u32 s0, s2, s0
	s_addc_u32 s1, s3, s1
	s_load_dwordx4 s[16:19], s[0:1], 0x0
	s_ashr_i32 s0, s8, 31
	v_mov_b32_e32 v3, v0
	s_waitcnt lgkmcnt(0)
	s_mul_i32 s1, s16, s0
	s_mul_hi_u32 s2, s16, s8
	s_mul_i32 s3, s17, s8
	s_add_i32 s1, s2, s1
	s_mul_i32 s0, s18, s0
	s_add_i32 s6, s1, s3
	s_mul_hi_u32 s1, s18, s8
	s_add_i32 s0, s1, s0
	s_mul_i32 s1, s19, s8
	s_add_i32 s7, s0, s1
	s_add_u32 s2, s12, s10
	s_addc_u32 s3, s13, s11
	s_load_dwordx2 s[12:13], s[2:3], 0x0
	s_load_dwordx2 s[0:1], s[14:15], 0x0
	s_mul_i32 s10, s16, s8
	s_load_dword s2, s[4:5], 0x2c
	s_mul_i32 s9, s18, s8
	s_waitcnt lgkmcnt(0)
	s_add_u32 s5, s12, s10
	s_addc_u32 s14, s13, s6
	s_add_u32 s11, s12, s9
	s_addc_u32 s12, s13, s7
	s_and_b32 s4, s2, 0xffff
	s_mov_b64 s[2:3], 0
	v_mov_b32_e32 v1, s14
	v_mov_b32_e32 v2, s12
.LBB3_2:                                ; =>This Inner Loop Header: Depth=1
	v_ashrrev_i32_e32 v6, 31, v3
	v_add_co_u32_e32 v4, vcc, s5, v3
	v_addc_co_u32_e32 v5, vcc, v1, v6, vcc
	flat_load_ubyte v7, v[4:5]
	v_add_co_u32_e32 v4, vcc, s11, v3
	v_add_u32_e32 v3, s4, v3
	v_addc_co_u32_e32 v5, vcc, v2, v6, vcc
	v_cmp_le_i32_e32 vcc, s8, v3
	s_or_b64 s[2:3], vcc, s[2:3]
	s_waitcnt vmcnt(0) lgkmcnt(0)
	flat_store_byte v[4:5], v7
	s_andn2_b64 exec, exec, s[2:3]
	s_cbranch_execnz .LBB3_2
; %bb.3:
	s_or_b64 exec, exec, s[2:3]
	s_add_u32 s2, s0, s10
	s_addc_u32 s5, s1, s6
	s_add_u32 s3, s0, s9
	s_addc_u32 s6, s1, s7
	s_mov_b64 s[0:1], 0
	v_mov_b32_e32 v1, s5
	v_mov_b32_e32 v2, s6
.LBB3_4:                                ; =>This Inner Loop Header: Depth=1
	v_ashrrev_i32_e32 v3, 31, v0
	v_add_co_u32_e32 v4, vcc, s2, v0
	v_addc_co_u32_e32 v5, vcc, v1, v3, vcc
	flat_load_ubyte v6, v[4:5]
	v_add_co_u32_e32 v4, vcc, s3, v0
	v_add_u32_e32 v0, s4, v0
	v_addc_co_u32_e32 v5, vcc, v2, v3, vcc
	v_cmp_le_i32_e32 vcc, s8, v0
	s_or_b64 s[0:1], vcc, s[0:1]
	s_waitcnt vmcnt(0) lgkmcnt(0)
	flat_store_byte v[4:5], v6
	s_andn2_b64 exec, exec, s[0:1]
	s_cbranch_execnz .LBB3_4
.LBB3_5:
	s_endpgm
	.section	.rodata,"a",@progbits
	.p2align	6, 0x0
	.amdhsa_kernel _ZN4vllm18copy_blocks_kernelIhEEvPlS1_PKli
		.amdhsa_group_segment_fixed_size 0
		.amdhsa_private_segment_fixed_size 0
		.amdhsa_kernarg_size 288
		.amdhsa_user_sgpr_count 6
		.amdhsa_user_sgpr_private_segment_buffer 1
		.amdhsa_user_sgpr_dispatch_ptr 0
		.amdhsa_user_sgpr_queue_ptr 0
		.amdhsa_user_sgpr_kernarg_segment_ptr 1
		.amdhsa_user_sgpr_dispatch_id 0
		.amdhsa_user_sgpr_flat_scratch_init 0
		.amdhsa_user_sgpr_kernarg_preload_length 0
		.amdhsa_user_sgpr_kernarg_preload_offset 0
		.amdhsa_user_sgpr_private_segment_size 0
		.amdhsa_uses_dynamic_stack 0
		.amdhsa_system_sgpr_private_segment_wavefront_offset 0
		.amdhsa_system_sgpr_workgroup_id_x 1
		.amdhsa_system_sgpr_workgroup_id_y 1
		.amdhsa_system_sgpr_workgroup_id_z 0
		.amdhsa_system_sgpr_workgroup_info 0
		.amdhsa_system_vgpr_workitem_id 0
		.amdhsa_next_free_vgpr 8
		.amdhsa_next_free_sgpr 20
		.amdhsa_accum_offset 8
		.amdhsa_reserve_vcc 1
		.amdhsa_reserve_flat_scratch 0
		.amdhsa_float_round_mode_32 0
		.amdhsa_float_round_mode_16_64 0
		.amdhsa_float_denorm_mode_32 3
		.amdhsa_float_denorm_mode_16_64 3
		.amdhsa_dx10_clamp 1
		.amdhsa_ieee_mode 1
		.amdhsa_fp16_overflow 0
		.amdhsa_tg_split 0
		.amdhsa_exception_fp_ieee_invalid_op 0
		.amdhsa_exception_fp_denorm_src 0
		.amdhsa_exception_fp_ieee_div_zero 0
		.amdhsa_exception_fp_ieee_overflow 0
		.amdhsa_exception_fp_ieee_underflow 0
		.amdhsa_exception_fp_ieee_inexact 0
		.amdhsa_exception_int_div_zero 0
	.end_amdhsa_kernel
	.section	.text._ZN4vllm18copy_blocks_kernelIhEEvPlS1_PKli,"axG",@progbits,_ZN4vllm18copy_blocks_kernelIhEEvPlS1_PKli,comdat
.Lfunc_end3:
	.size	_ZN4vllm18copy_blocks_kernelIhEEvPlS1_PKli, .Lfunc_end3-_ZN4vllm18copy_blocks_kernelIhEEvPlS1_PKli
                                        ; -- End function
	.section	.AMDGPU.csdata,"",@progbits
; Kernel info:
; codeLenInByte = 380
; NumSgprs: 24
; NumVgprs: 8
; NumAgprs: 0
; TotalNumVgprs: 8
; ScratchSize: 0
; MemoryBound: 0
; FloatMode: 240
; IeeeMode: 1
; LDSByteSize: 0 bytes/workgroup (compile time only)
; SGPRBlocks: 2
; VGPRBlocks: 0
; NumSGPRsForWavesPerEU: 24
; NumVGPRsForWavesPerEU: 8
; AccumOffset: 8
; Occupancy: 8
; WaveLimiterHint : 1
; COMPUTE_PGM_RSRC2:SCRATCH_EN: 0
; COMPUTE_PGM_RSRC2:USER_SGPR: 6
; COMPUTE_PGM_RSRC2:TRAP_HANDLER: 0
; COMPUTE_PGM_RSRC2:TGID_X_EN: 1
; COMPUTE_PGM_RSRC2:TGID_Y_EN: 1
; COMPUTE_PGM_RSRC2:TGID_Z_EN: 0
; COMPUTE_PGM_RSRC2:TIDIG_COMP_CNT: 0
; COMPUTE_PGM_RSRC3_GFX90A:ACCUM_OFFSET: 1
; COMPUTE_PGM_RSRC3_GFX90A:TG_SPLIT: 0
	.section	.text._ZN4vllm22copy_blocks_mla_kernelIfEEvPlPKli,"axG",@progbits,_ZN4vllm22copy_blocks_mla_kernelIfEEvPlPKli,comdat
	.protected	_ZN4vllm22copy_blocks_mla_kernelIfEEvPlPKli ; -- Begin function _ZN4vllm22copy_blocks_mla_kernelIfEEvPlPKli
	.globl	_ZN4vllm22copy_blocks_mla_kernelIfEEvPlPKli
	.p2align	8
	.type	_ZN4vllm22copy_blocks_mla_kernelIfEEvPlPKli,@function
_ZN4vllm22copy_blocks_mla_kernelIfEEvPlPKli: ; @_ZN4vllm22copy_blocks_mla_kernelIfEEvPlPKli
; %bb.0:
	s_load_dword s8, s[4:5], 0x10
	s_waitcnt lgkmcnt(0)
	v_cmp_gt_i32_e32 vcc, s8, v0
	s_and_saveexec_b64 s[0:1], vcc
	s_cbranch_execz .LBB4_3
; %bb.1:
	s_load_dwordx4 s[0:3], s[4:5], 0x0
	s_load_dword s9, s[4:5], 0x24
	s_lshl_b32 s10, s7, 1
	s_ashr_i32 s11, s10, 31
	s_lshl_b64 s[4:5], s[10:11], 3
	s_waitcnt lgkmcnt(0)
	s_add_u32 s2, s2, s4
	s_addc_u32 s3, s3, s5
	s_load_dwordx4 s[12:15], s[2:3], 0x0
	s_waitcnt lgkmcnt(0)
	s_mul_i32 s2, s15, s8
	s_mul_hi_u32 s3, s14, s8
	s_mul_i32 s4, s13, s8
	s_mul_hi_u32 s7, s12, s8
	s_add_i32 s5, s3, s2
	s_add_i32 s3, s7, s4
	s_ashr_i32 s7, s6, 31
	s_lshl_b64 s[6:7], s[6:7], 3
	s_add_u32 s0, s0, s6
	s_addc_u32 s1, s1, s7
	s_load_dwordx2 s[0:1], s[0:1], 0x0
	s_mul_i32 s2, s12, s8
	s_lshl_b64 s[2:3], s[2:3], 2
	s_mul_i32 s4, s14, s8
	s_waitcnt lgkmcnt(0)
	s_add_u32 s2, s0, s2
	s_addc_u32 s6, s1, s3
	s_lshl_b64 s[4:5], s[4:5], 2
	s_add_u32 s3, s0, s4
	s_addc_u32 s5, s1, s5
	s_and_b32 s4, s9, 0xffff
	s_mov_b64 s[0:1], 0
	v_mov_b32_e32 v2, s6
	v_mov_b32_e32 v3, s5
.LBB4_2:                                ; =>This Inner Loop Header: Depth=1
	v_ashrrev_i32_e32 v1, 31, v0
	v_lshlrev_b64 v[4:5], 2, v[0:1]
	v_add_co_u32_e32 v6, vcc, s2, v4
	v_addc_co_u32_e32 v7, vcc, v2, v5, vcc
	flat_load_dword v1, v[6:7]
	v_add_co_u32_e32 v4, vcc, s3, v4
	v_addc_co_u32_e32 v5, vcc, v3, v5, vcc
	v_add_u32_e32 v0, s4, v0
	v_cmp_le_i32_e32 vcc, s8, v0
	s_or_b64 s[0:1], vcc, s[0:1]
	s_waitcnt vmcnt(0) lgkmcnt(0)
	flat_store_dword v[4:5], v1
	s_andn2_b64 exec, exec, s[0:1]
	s_cbranch_execnz .LBB4_2
.LBB4_3:
	s_endpgm
	.section	.rodata,"a",@progbits
	.p2align	6, 0x0
	.amdhsa_kernel _ZN4vllm22copy_blocks_mla_kernelIfEEvPlPKli
		.amdhsa_group_segment_fixed_size 0
		.amdhsa_private_segment_fixed_size 0
		.amdhsa_kernarg_size 280
		.amdhsa_user_sgpr_count 6
		.amdhsa_user_sgpr_private_segment_buffer 1
		.amdhsa_user_sgpr_dispatch_ptr 0
		.amdhsa_user_sgpr_queue_ptr 0
		.amdhsa_user_sgpr_kernarg_segment_ptr 1
		.amdhsa_user_sgpr_dispatch_id 0
		.amdhsa_user_sgpr_flat_scratch_init 0
		.amdhsa_user_sgpr_kernarg_preload_length 0
		.amdhsa_user_sgpr_kernarg_preload_offset 0
		.amdhsa_user_sgpr_private_segment_size 0
		.amdhsa_uses_dynamic_stack 0
		.amdhsa_system_sgpr_private_segment_wavefront_offset 0
		.amdhsa_system_sgpr_workgroup_id_x 1
		.amdhsa_system_sgpr_workgroup_id_y 1
		.amdhsa_system_sgpr_workgroup_id_z 0
		.amdhsa_system_sgpr_workgroup_info 0
		.amdhsa_system_vgpr_workitem_id 0
		.amdhsa_next_free_vgpr 8
		.amdhsa_next_free_sgpr 16
		.amdhsa_accum_offset 8
		.amdhsa_reserve_vcc 1
		.amdhsa_reserve_flat_scratch 0
		.amdhsa_float_round_mode_32 0
		.amdhsa_float_round_mode_16_64 0
		.amdhsa_float_denorm_mode_32 3
		.amdhsa_float_denorm_mode_16_64 3
		.amdhsa_dx10_clamp 1
		.amdhsa_ieee_mode 1
		.amdhsa_fp16_overflow 0
		.amdhsa_tg_split 0
		.amdhsa_exception_fp_ieee_invalid_op 0
		.amdhsa_exception_fp_denorm_src 0
		.amdhsa_exception_fp_ieee_div_zero 0
		.amdhsa_exception_fp_ieee_overflow 0
		.amdhsa_exception_fp_ieee_underflow 0
		.amdhsa_exception_fp_ieee_inexact 0
		.amdhsa_exception_int_div_zero 0
	.end_amdhsa_kernel
	.section	.text._ZN4vllm22copy_blocks_mla_kernelIfEEvPlPKli,"axG",@progbits,_ZN4vllm22copy_blocks_mla_kernelIfEEvPlPKli,comdat
.Lfunc_end4:
	.size	_ZN4vllm22copy_blocks_mla_kernelIfEEvPlPKli, .Lfunc_end4-_ZN4vllm22copy_blocks_mla_kernelIfEEvPlPKli
                                        ; -- End function
	.section	.AMDGPU.csdata,"",@progbits
; Kernel info:
; codeLenInByte = 252
; NumSgprs: 20
; NumVgprs: 8
; NumAgprs: 0
; TotalNumVgprs: 8
; ScratchSize: 0
; MemoryBound: 0
; FloatMode: 240
; IeeeMode: 1
; LDSByteSize: 0 bytes/workgroup (compile time only)
; SGPRBlocks: 2
; VGPRBlocks: 0
; NumSGPRsForWavesPerEU: 20
; NumVGPRsForWavesPerEU: 8
; AccumOffset: 8
; Occupancy: 8
; WaveLimiterHint : 1
; COMPUTE_PGM_RSRC2:SCRATCH_EN: 0
; COMPUTE_PGM_RSRC2:USER_SGPR: 6
; COMPUTE_PGM_RSRC2:TRAP_HANDLER: 0
; COMPUTE_PGM_RSRC2:TGID_X_EN: 1
; COMPUTE_PGM_RSRC2:TGID_Y_EN: 1
; COMPUTE_PGM_RSRC2:TGID_Z_EN: 0
; COMPUTE_PGM_RSRC2:TIDIG_COMP_CNT: 0
; COMPUTE_PGM_RSRC3_GFX90A:ACCUM_OFFSET: 1
; COMPUTE_PGM_RSRC3_GFX90A:TG_SPLIT: 0
	.section	.text._ZN4vllm22copy_blocks_mla_kernelIN3c104HalfEEEvPlPKli,"axG",@progbits,_ZN4vllm22copy_blocks_mla_kernelIN3c104HalfEEEvPlPKli,comdat
	.protected	_ZN4vllm22copy_blocks_mla_kernelIN3c104HalfEEEvPlPKli ; -- Begin function _ZN4vllm22copy_blocks_mla_kernelIN3c104HalfEEEvPlPKli
	.globl	_ZN4vllm22copy_blocks_mla_kernelIN3c104HalfEEEvPlPKli
	.p2align	8
	.type	_ZN4vllm22copy_blocks_mla_kernelIN3c104HalfEEEvPlPKli,@function
_ZN4vllm22copy_blocks_mla_kernelIN3c104HalfEEEvPlPKli: ; @_ZN4vllm22copy_blocks_mla_kernelIN3c104HalfEEEvPlPKli
; %bb.0:
	s_load_dword s8, s[4:5], 0x10
	s_waitcnt lgkmcnt(0)
	v_cmp_gt_i32_e32 vcc, s8, v0
	s_and_saveexec_b64 s[0:1], vcc
	s_cbranch_execz .LBB5_3
; %bb.1:
	s_load_dwordx4 s[0:3], s[4:5], 0x0
	s_load_dword s9, s[4:5], 0x24
	s_lshl_b32 s10, s7, 1
	s_ashr_i32 s11, s10, 31
	s_lshl_b64 s[4:5], s[10:11], 3
	s_waitcnt lgkmcnt(0)
	s_add_u32 s2, s2, s4
	s_addc_u32 s3, s3, s5
	s_load_dwordx4 s[12:15], s[2:3], 0x0
	s_waitcnt lgkmcnt(0)
	s_mul_i32 s2, s15, s8
	s_mul_hi_u32 s3, s14, s8
	s_mul_i32 s4, s13, s8
	s_mul_hi_u32 s7, s12, s8
	s_add_i32 s5, s3, s2
	s_add_i32 s3, s7, s4
	s_ashr_i32 s7, s6, 31
	s_lshl_b64 s[6:7], s[6:7], 3
	s_add_u32 s0, s0, s6
	s_addc_u32 s1, s1, s7
	s_load_dwordx2 s[0:1], s[0:1], 0x0
	s_mul_i32 s2, s12, s8
	s_lshl_b64 s[2:3], s[2:3], 1
	s_mul_i32 s4, s14, s8
	s_waitcnt lgkmcnt(0)
	s_add_u32 s2, s0, s2
	s_addc_u32 s6, s1, s3
	s_lshl_b64 s[4:5], s[4:5], 1
	s_add_u32 s3, s0, s4
	s_addc_u32 s5, s1, s5
	s_and_b32 s4, s9, 0xffff
	s_mov_b64 s[0:1], 0
	v_mov_b32_e32 v2, s6
	v_mov_b32_e32 v3, s5
.LBB5_2:                                ; =>This Inner Loop Header: Depth=1
	v_ashrrev_i32_e32 v1, 31, v0
	v_lshlrev_b64 v[4:5], 1, v[0:1]
	v_add_co_u32_e32 v6, vcc, s2, v4
	v_addc_co_u32_e32 v7, vcc, v2, v5, vcc
	flat_load_ushort v1, v[6:7]
	v_add_co_u32_e32 v4, vcc, s3, v4
	v_addc_co_u32_e32 v5, vcc, v3, v5, vcc
	v_add_u32_e32 v0, s4, v0
	v_cmp_le_i32_e32 vcc, s8, v0
	s_or_b64 s[0:1], vcc, s[0:1]
	s_waitcnt vmcnt(0) lgkmcnt(0)
	flat_store_short v[4:5], v1
	s_andn2_b64 exec, exec, s[0:1]
	s_cbranch_execnz .LBB5_2
.LBB5_3:
	s_endpgm
	.section	.rodata,"a",@progbits
	.p2align	6, 0x0
	.amdhsa_kernel _ZN4vllm22copy_blocks_mla_kernelIN3c104HalfEEEvPlPKli
		.amdhsa_group_segment_fixed_size 0
		.amdhsa_private_segment_fixed_size 0
		.amdhsa_kernarg_size 280
		.amdhsa_user_sgpr_count 6
		.amdhsa_user_sgpr_private_segment_buffer 1
		.amdhsa_user_sgpr_dispatch_ptr 0
		.amdhsa_user_sgpr_queue_ptr 0
		.amdhsa_user_sgpr_kernarg_segment_ptr 1
		.amdhsa_user_sgpr_dispatch_id 0
		.amdhsa_user_sgpr_flat_scratch_init 0
		.amdhsa_user_sgpr_kernarg_preload_length 0
		.amdhsa_user_sgpr_kernarg_preload_offset 0
		.amdhsa_user_sgpr_private_segment_size 0
		.amdhsa_uses_dynamic_stack 0
		.amdhsa_system_sgpr_private_segment_wavefront_offset 0
		.amdhsa_system_sgpr_workgroup_id_x 1
		.amdhsa_system_sgpr_workgroup_id_y 1
		.amdhsa_system_sgpr_workgroup_id_z 0
		.amdhsa_system_sgpr_workgroup_info 0
		.amdhsa_system_vgpr_workitem_id 0
		.amdhsa_next_free_vgpr 8
		.amdhsa_next_free_sgpr 16
		.amdhsa_accum_offset 8
		.amdhsa_reserve_vcc 1
		.amdhsa_reserve_flat_scratch 0
		.amdhsa_float_round_mode_32 0
		.amdhsa_float_round_mode_16_64 0
		.amdhsa_float_denorm_mode_32 3
		.amdhsa_float_denorm_mode_16_64 3
		.amdhsa_dx10_clamp 1
		.amdhsa_ieee_mode 1
		.amdhsa_fp16_overflow 0
		.amdhsa_tg_split 0
		.amdhsa_exception_fp_ieee_invalid_op 0
		.amdhsa_exception_fp_denorm_src 0
		.amdhsa_exception_fp_ieee_div_zero 0
		.amdhsa_exception_fp_ieee_overflow 0
		.amdhsa_exception_fp_ieee_underflow 0
		.amdhsa_exception_fp_ieee_inexact 0
		.amdhsa_exception_int_div_zero 0
	.end_amdhsa_kernel
	.section	.text._ZN4vllm22copy_blocks_mla_kernelIN3c104HalfEEEvPlPKli,"axG",@progbits,_ZN4vllm22copy_blocks_mla_kernelIN3c104HalfEEEvPlPKli,comdat
.Lfunc_end5:
	.size	_ZN4vllm22copy_blocks_mla_kernelIN3c104HalfEEEvPlPKli, .Lfunc_end5-_ZN4vllm22copy_blocks_mla_kernelIN3c104HalfEEEvPlPKli
                                        ; -- End function
	.section	.AMDGPU.csdata,"",@progbits
; Kernel info:
; codeLenInByte = 252
; NumSgprs: 20
; NumVgprs: 8
; NumAgprs: 0
; TotalNumVgprs: 8
; ScratchSize: 0
; MemoryBound: 0
; FloatMode: 240
; IeeeMode: 1
; LDSByteSize: 0 bytes/workgroup (compile time only)
; SGPRBlocks: 2
; VGPRBlocks: 0
; NumSGPRsForWavesPerEU: 20
; NumVGPRsForWavesPerEU: 8
; AccumOffset: 8
; Occupancy: 8
; WaveLimiterHint : 1
; COMPUTE_PGM_RSRC2:SCRATCH_EN: 0
; COMPUTE_PGM_RSRC2:USER_SGPR: 6
; COMPUTE_PGM_RSRC2:TRAP_HANDLER: 0
; COMPUTE_PGM_RSRC2:TGID_X_EN: 1
; COMPUTE_PGM_RSRC2:TGID_Y_EN: 1
; COMPUTE_PGM_RSRC2:TGID_Z_EN: 0
; COMPUTE_PGM_RSRC2:TIDIG_COMP_CNT: 0
; COMPUTE_PGM_RSRC3_GFX90A:ACCUM_OFFSET: 1
; COMPUTE_PGM_RSRC3_GFX90A:TG_SPLIT: 0
	.section	.text._ZN4vllm22copy_blocks_mla_kernelIN3c108BFloat16EEEvPlPKli,"axG",@progbits,_ZN4vllm22copy_blocks_mla_kernelIN3c108BFloat16EEEvPlPKli,comdat
	.protected	_ZN4vllm22copy_blocks_mla_kernelIN3c108BFloat16EEEvPlPKli ; -- Begin function _ZN4vllm22copy_blocks_mla_kernelIN3c108BFloat16EEEvPlPKli
	.globl	_ZN4vllm22copy_blocks_mla_kernelIN3c108BFloat16EEEvPlPKli
	.p2align	8
	.type	_ZN4vllm22copy_blocks_mla_kernelIN3c108BFloat16EEEvPlPKli,@function
_ZN4vllm22copy_blocks_mla_kernelIN3c108BFloat16EEEvPlPKli: ; @_ZN4vllm22copy_blocks_mla_kernelIN3c108BFloat16EEEvPlPKli
; %bb.0:
	s_load_dword s8, s[4:5], 0x10
	s_waitcnt lgkmcnt(0)
	v_cmp_gt_i32_e32 vcc, s8, v0
	s_and_saveexec_b64 s[0:1], vcc
	s_cbranch_execz .LBB6_3
; %bb.1:
	s_load_dwordx4 s[0:3], s[4:5], 0x0
	s_load_dword s9, s[4:5], 0x24
	s_lshl_b32 s10, s7, 1
	s_ashr_i32 s11, s10, 31
	s_lshl_b64 s[4:5], s[10:11], 3
	s_waitcnt lgkmcnt(0)
	s_add_u32 s2, s2, s4
	s_addc_u32 s3, s3, s5
	s_load_dwordx4 s[12:15], s[2:3], 0x0
	s_waitcnt lgkmcnt(0)
	s_mul_i32 s2, s15, s8
	s_mul_hi_u32 s3, s14, s8
	s_mul_i32 s4, s13, s8
	s_mul_hi_u32 s7, s12, s8
	s_add_i32 s5, s3, s2
	s_add_i32 s3, s7, s4
	s_ashr_i32 s7, s6, 31
	s_lshl_b64 s[6:7], s[6:7], 3
	s_add_u32 s0, s0, s6
	s_addc_u32 s1, s1, s7
	s_load_dwordx2 s[0:1], s[0:1], 0x0
	s_mul_i32 s2, s12, s8
	s_lshl_b64 s[2:3], s[2:3], 1
	s_mul_i32 s4, s14, s8
	s_waitcnt lgkmcnt(0)
	s_add_u32 s2, s0, s2
	s_addc_u32 s6, s1, s3
	s_lshl_b64 s[4:5], s[4:5], 1
	s_add_u32 s3, s0, s4
	s_addc_u32 s5, s1, s5
	s_and_b32 s4, s9, 0xffff
	s_mov_b64 s[0:1], 0
	v_mov_b32_e32 v2, s6
	v_mov_b32_e32 v3, s5
.LBB6_2:                                ; =>This Inner Loop Header: Depth=1
	v_ashrrev_i32_e32 v1, 31, v0
	v_lshlrev_b64 v[4:5], 1, v[0:1]
	v_add_co_u32_e32 v6, vcc, s2, v4
	v_addc_co_u32_e32 v7, vcc, v2, v5, vcc
	flat_load_ushort v1, v[6:7]
	v_add_co_u32_e32 v4, vcc, s3, v4
	v_addc_co_u32_e32 v5, vcc, v3, v5, vcc
	v_add_u32_e32 v0, s4, v0
	v_cmp_le_i32_e32 vcc, s8, v0
	s_or_b64 s[0:1], vcc, s[0:1]
	s_waitcnt vmcnt(0) lgkmcnt(0)
	flat_store_short v[4:5], v1
	s_andn2_b64 exec, exec, s[0:1]
	s_cbranch_execnz .LBB6_2
.LBB6_3:
	s_endpgm
	.section	.rodata,"a",@progbits
	.p2align	6, 0x0
	.amdhsa_kernel _ZN4vllm22copy_blocks_mla_kernelIN3c108BFloat16EEEvPlPKli
		.amdhsa_group_segment_fixed_size 0
		.amdhsa_private_segment_fixed_size 0
		.amdhsa_kernarg_size 280
		.amdhsa_user_sgpr_count 6
		.amdhsa_user_sgpr_private_segment_buffer 1
		.amdhsa_user_sgpr_dispatch_ptr 0
		.amdhsa_user_sgpr_queue_ptr 0
		.amdhsa_user_sgpr_kernarg_segment_ptr 1
		.amdhsa_user_sgpr_dispatch_id 0
		.amdhsa_user_sgpr_flat_scratch_init 0
		.amdhsa_user_sgpr_kernarg_preload_length 0
		.amdhsa_user_sgpr_kernarg_preload_offset 0
		.amdhsa_user_sgpr_private_segment_size 0
		.amdhsa_uses_dynamic_stack 0
		.amdhsa_system_sgpr_private_segment_wavefront_offset 0
		.amdhsa_system_sgpr_workgroup_id_x 1
		.amdhsa_system_sgpr_workgroup_id_y 1
		.amdhsa_system_sgpr_workgroup_id_z 0
		.amdhsa_system_sgpr_workgroup_info 0
		.amdhsa_system_vgpr_workitem_id 0
		.amdhsa_next_free_vgpr 8
		.amdhsa_next_free_sgpr 16
		.amdhsa_accum_offset 8
		.amdhsa_reserve_vcc 1
		.amdhsa_reserve_flat_scratch 0
		.amdhsa_float_round_mode_32 0
		.amdhsa_float_round_mode_16_64 0
		.amdhsa_float_denorm_mode_32 3
		.amdhsa_float_denorm_mode_16_64 3
		.amdhsa_dx10_clamp 1
		.amdhsa_ieee_mode 1
		.amdhsa_fp16_overflow 0
		.amdhsa_tg_split 0
		.amdhsa_exception_fp_ieee_invalid_op 0
		.amdhsa_exception_fp_denorm_src 0
		.amdhsa_exception_fp_ieee_div_zero 0
		.amdhsa_exception_fp_ieee_overflow 0
		.amdhsa_exception_fp_ieee_underflow 0
		.amdhsa_exception_fp_ieee_inexact 0
		.amdhsa_exception_int_div_zero 0
	.end_amdhsa_kernel
	.section	.text._ZN4vllm22copy_blocks_mla_kernelIN3c108BFloat16EEEvPlPKli,"axG",@progbits,_ZN4vllm22copy_blocks_mla_kernelIN3c108BFloat16EEEvPlPKli,comdat
.Lfunc_end6:
	.size	_ZN4vllm22copy_blocks_mla_kernelIN3c108BFloat16EEEvPlPKli, .Lfunc_end6-_ZN4vllm22copy_blocks_mla_kernelIN3c108BFloat16EEEvPlPKli
                                        ; -- End function
	.section	.AMDGPU.csdata,"",@progbits
; Kernel info:
; codeLenInByte = 252
; NumSgprs: 20
; NumVgprs: 8
; NumAgprs: 0
; TotalNumVgprs: 8
; ScratchSize: 0
; MemoryBound: 0
; FloatMode: 240
; IeeeMode: 1
; LDSByteSize: 0 bytes/workgroup (compile time only)
; SGPRBlocks: 2
; VGPRBlocks: 0
; NumSGPRsForWavesPerEU: 20
; NumVGPRsForWavesPerEU: 8
; AccumOffset: 8
; Occupancy: 8
; WaveLimiterHint : 1
; COMPUTE_PGM_RSRC2:SCRATCH_EN: 0
; COMPUTE_PGM_RSRC2:USER_SGPR: 6
; COMPUTE_PGM_RSRC2:TRAP_HANDLER: 0
; COMPUTE_PGM_RSRC2:TGID_X_EN: 1
; COMPUTE_PGM_RSRC2:TGID_Y_EN: 1
; COMPUTE_PGM_RSRC2:TGID_Z_EN: 0
; COMPUTE_PGM_RSRC2:TIDIG_COMP_CNT: 0
; COMPUTE_PGM_RSRC3_GFX90A:ACCUM_OFFSET: 1
; COMPUTE_PGM_RSRC3_GFX90A:TG_SPLIT: 0
	.section	.text._ZN4vllm22copy_blocks_mla_kernelIhEEvPlPKli,"axG",@progbits,_ZN4vllm22copy_blocks_mla_kernelIhEEvPlPKli,comdat
	.protected	_ZN4vllm22copy_blocks_mla_kernelIhEEvPlPKli ; -- Begin function _ZN4vllm22copy_blocks_mla_kernelIhEEvPlPKli
	.globl	_ZN4vllm22copy_blocks_mla_kernelIhEEvPlPKli
	.p2align	8
	.type	_ZN4vllm22copy_blocks_mla_kernelIhEEvPlPKli,@function
_ZN4vllm22copy_blocks_mla_kernelIhEEvPlPKli: ; @_ZN4vllm22copy_blocks_mla_kernelIhEEvPlPKli
; %bb.0:
	s_load_dword s8, s[4:5], 0x10
	s_waitcnt lgkmcnt(0)
	v_cmp_gt_i32_e32 vcc, s8, v0
	s_and_saveexec_b64 s[0:1], vcc
	s_cbranch_execz .LBB7_3
; %bb.1:
	s_load_dwordx4 s[0:3], s[4:5], 0x0
	s_load_dword s9, s[4:5], 0x24
	s_lshl_b32 s10, s7, 1
	s_ashr_i32 s11, s10, 31
	s_lshl_b64 s[4:5], s[10:11], 3
	s_waitcnt lgkmcnt(0)
	s_add_u32 s2, s2, s4
	s_addc_u32 s3, s3, s5
	s_load_dwordx4 s[12:15], s[2:3], 0x0
	s_ashr_i32 s7, s6, 31
	s_waitcnt lgkmcnt(0)
	s_mul_i32 s2, s15, s8
	s_mul_hi_u32 s3, s14, s8
	s_mul_i32 s4, s13, s8
	s_mul_hi_u32 s5, s12, s8
	s_add_i32 s10, s3, s2
	s_add_i32 s5, s5, s4
	s_lshl_b64 s[2:3], s[6:7], 3
	s_add_u32 s0, s0, s2
	s_addc_u32 s1, s1, s3
	s_load_dwordx2 s[0:1], s[0:1], 0x0
	s_mul_i32 s2, s12, s8
	s_mul_i32 s3, s14, s8
	s_waitcnt lgkmcnt(0)
	s_add_u32 s2, s0, s2
	s_addc_u32 s5, s1, s5
	s_add_u32 s3, s0, s3
	s_addc_u32 s6, s1, s10
	s_and_b32 s4, s9, 0xffff
	s_mov_b64 s[0:1], 0
	v_mov_b32_e32 v1, s5
	v_mov_b32_e32 v2, s6
.LBB7_2:                                ; =>This Inner Loop Header: Depth=1
	v_ashrrev_i32_e32 v3, 31, v0
	v_add_co_u32_e32 v4, vcc, s2, v0
	v_addc_co_u32_e32 v5, vcc, v1, v3, vcc
	flat_load_ubyte v6, v[4:5]
	v_add_co_u32_e32 v4, vcc, s3, v0
	v_add_u32_e32 v0, s4, v0
	v_addc_co_u32_e32 v5, vcc, v2, v3, vcc
	v_cmp_le_i32_e32 vcc, s8, v0
	s_or_b64 s[0:1], vcc, s[0:1]
	s_waitcnt vmcnt(0) lgkmcnt(0)
	flat_store_byte v[4:5], v6
	s_andn2_b64 exec, exec, s[0:1]
	s_cbranch_execnz .LBB7_2
.LBB7_3:
	s_endpgm
	.section	.rodata,"a",@progbits
	.p2align	6, 0x0
	.amdhsa_kernel _ZN4vllm22copy_blocks_mla_kernelIhEEvPlPKli
		.amdhsa_group_segment_fixed_size 0
		.amdhsa_private_segment_fixed_size 0
		.amdhsa_kernarg_size 280
		.amdhsa_user_sgpr_count 6
		.amdhsa_user_sgpr_private_segment_buffer 1
		.amdhsa_user_sgpr_dispatch_ptr 0
		.amdhsa_user_sgpr_queue_ptr 0
		.amdhsa_user_sgpr_kernarg_segment_ptr 1
		.amdhsa_user_sgpr_dispatch_id 0
		.amdhsa_user_sgpr_flat_scratch_init 0
		.amdhsa_user_sgpr_kernarg_preload_length 0
		.amdhsa_user_sgpr_kernarg_preload_offset 0
		.amdhsa_user_sgpr_private_segment_size 0
		.amdhsa_uses_dynamic_stack 0
		.amdhsa_system_sgpr_private_segment_wavefront_offset 0
		.amdhsa_system_sgpr_workgroup_id_x 1
		.amdhsa_system_sgpr_workgroup_id_y 1
		.amdhsa_system_sgpr_workgroup_id_z 0
		.amdhsa_system_sgpr_workgroup_info 0
		.amdhsa_system_vgpr_workitem_id 0
		.amdhsa_next_free_vgpr 7
		.amdhsa_next_free_sgpr 16
		.amdhsa_accum_offset 8
		.amdhsa_reserve_vcc 1
		.amdhsa_reserve_flat_scratch 0
		.amdhsa_float_round_mode_32 0
		.amdhsa_float_round_mode_16_64 0
		.amdhsa_float_denorm_mode_32 3
		.amdhsa_float_denorm_mode_16_64 3
		.amdhsa_dx10_clamp 1
		.amdhsa_ieee_mode 1
		.amdhsa_fp16_overflow 0
		.amdhsa_tg_split 0
		.amdhsa_exception_fp_ieee_invalid_op 0
		.amdhsa_exception_fp_denorm_src 0
		.amdhsa_exception_fp_ieee_div_zero 0
		.amdhsa_exception_fp_ieee_overflow 0
		.amdhsa_exception_fp_ieee_underflow 0
		.amdhsa_exception_fp_ieee_inexact 0
		.amdhsa_exception_int_div_zero 0
	.end_amdhsa_kernel
	.section	.text._ZN4vllm22copy_blocks_mla_kernelIhEEvPlPKli,"axG",@progbits,_ZN4vllm22copy_blocks_mla_kernelIhEEvPlPKli,comdat
.Lfunc_end7:
	.size	_ZN4vllm22copy_blocks_mla_kernelIhEEvPlPKli, .Lfunc_end7-_ZN4vllm22copy_blocks_mla_kernelIhEEvPlPKli
                                        ; -- End function
	.section	.AMDGPU.csdata,"",@progbits
; Kernel info:
; codeLenInByte = 236
; NumSgprs: 20
; NumVgprs: 7
; NumAgprs: 0
; TotalNumVgprs: 7
; ScratchSize: 0
; MemoryBound: 0
; FloatMode: 240
; IeeeMode: 1
; LDSByteSize: 0 bytes/workgroup (compile time only)
; SGPRBlocks: 2
; VGPRBlocks: 0
; NumSGPRsForWavesPerEU: 20
; NumVGPRsForWavesPerEU: 7
; AccumOffset: 8
; Occupancy: 8
; WaveLimiterHint : 1
; COMPUTE_PGM_RSRC2:SCRATCH_EN: 0
; COMPUTE_PGM_RSRC2:USER_SGPR: 6
; COMPUTE_PGM_RSRC2:TRAP_HANDLER: 0
; COMPUTE_PGM_RSRC2:TGID_X_EN: 1
; COMPUTE_PGM_RSRC2:TGID_Y_EN: 1
; COMPUTE_PGM_RSRC2:TGID_Z_EN: 0
; COMPUTE_PGM_RSRC2:TIDIG_COMP_CNT: 0
; COMPUTE_PGM_RSRC3_GFX90A:ACCUM_OFFSET: 1
; COMPUTE_PGM_RSRC3_GFX90A:TG_SPLIT: 0
	.section	.text._ZN4vllm24reshape_and_cache_kernelIffLNS_18Fp8KVCacheDataTypeE0EEEvPKT_S4_PT0_S6_PKliiiiiiPKfSA_,"axG",@progbits,_ZN4vllm24reshape_and_cache_kernelIffLNS_18Fp8KVCacheDataTypeE0EEEvPKT_S4_PT0_S6_PKliiiiiiPKfSA_,comdat
	.protected	_ZN4vllm24reshape_and_cache_kernelIffLNS_18Fp8KVCacheDataTypeE0EEEvPKT_S4_PT0_S6_PKliiiiiiPKfSA_ ; -- Begin function _ZN4vllm24reshape_and_cache_kernelIffLNS_18Fp8KVCacheDataTypeE0EEEvPKT_S4_PT0_S6_PKliiiiiiPKfSA_
	.globl	_ZN4vllm24reshape_and_cache_kernelIffLNS_18Fp8KVCacheDataTypeE0EEEvPKT_S4_PT0_S6_PKliiiiiiPKfSA_
	.p2align	8
	.type	_ZN4vllm24reshape_and_cache_kernelIffLNS_18Fp8KVCacheDataTypeE0EEEvPKT_S4_PT0_S6_PKliiiiiiPKfSA_,@function
_ZN4vllm24reshape_and_cache_kernelIffLNS_18Fp8KVCacheDataTypeE0EEEvPKT_S4_PT0_S6_PKliiiiiiPKfSA_: ; @_ZN4vllm24reshape_and_cache_kernelIffLNS_18Fp8KVCacheDataTypeE0EEEvPKT_S4_PT0_S6_PKliiiiiiPKfSA_
; %bb.0:
	s_load_dwordx2 s[0:1], s[4:5], 0x20
	s_mov_b32 s7, 0
	s_lshl_b64 s[2:3], s[6:7], 3
	s_waitcnt lgkmcnt(0)
	s_add_u32 s0, s0, s2
	s_addc_u32 s1, s1, s3
	s_load_dwordx2 s[20:21], s[0:1], 0x0
	s_waitcnt lgkmcnt(0)
	v_cmp_lt_i64_e64 s[0:1], s[20:21], 0
	s_and_b64 vcc, exec, s[0:1]
	s_cbranch_vccnz .LBB8_7
; %bb.1:
	s_load_dwordx2 s[2:3], s[4:5], 0x38
	s_load_dwordx4 s[16:19], s[4:5], 0x28
	s_waitcnt lgkmcnt(0)
	s_ashr_i32 s23, s2, 31
	s_mov_b32 s22, s2
	s_or_b64 s[0:1], s[20:21], s[22:23]
	s_mov_b32 s0, s7
	s_cmp_lg_u64 s[0:1], 0
	s_cbranch_scc0 .LBB8_8
; %bb.2:
	s_add_u32 s0, s22, s23
	s_mov_b32 s10, s23
	s_mov_b32 s11, s23
	s_addc_u32 s1, s23, s23
	s_xor_b64 s[12:13], s[0:1], s[10:11]
	v_cvt_f32_u32_e32 v1, s12
	v_cvt_f32_u32_e32 v2, s13
	s_sub_u32 s0, 0, s12
	s_subb_u32 s1, 0, s13
	v_madmk_f32 v1, v2, 0x4f800000, v1
	v_rcp_f32_e32 v1, v1
	v_mul_f32_e32 v1, 0x5f7ffffc, v1
	v_mul_f32_e32 v2, 0x2f800000, v1
	v_trunc_f32_e32 v2, v2
	v_madmk_f32 v1, v2, 0xcf800000, v1
	v_cvt_u32_f32_e32 v2, v2
	v_cvt_u32_f32_e32 v1, v1
	v_readfirstlane_b32 s7, v2
	v_readfirstlane_b32 s14, v1
	s_mul_i32 s15, s0, s7
	s_mul_hi_u32 s25, s0, s14
	s_mul_i32 s24, s1, s14
	s_add_i32 s15, s25, s15
	s_add_i32 s15, s15, s24
	s_mul_i32 s26, s0, s14
	s_mul_hi_u32 s24, s14, s15
	s_mul_i32 s25, s14, s15
	s_mul_hi_u32 s14, s14, s26
	s_add_u32 s14, s14, s25
	s_addc_u32 s24, 0, s24
	s_mul_hi_u32 s27, s7, s26
	s_mul_i32 s26, s7, s26
	s_add_u32 s14, s14, s26
	s_mul_hi_u32 s25, s7, s15
	s_addc_u32 s14, s24, s27
	s_addc_u32 s24, s25, 0
	s_mul_i32 s15, s7, s15
	s_add_u32 s14, s14, s15
	s_addc_u32 s15, 0, s24
	v_add_co_u32_e32 v1, vcc, s14, v1
	s_cmp_lg_u64 vcc, 0
	s_addc_u32 s7, s7, s15
	v_readfirstlane_b32 s15, v1
	s_mul_i32 s14, s0, s7
	s_mul_hi_u32 s24, s0, s15
	s_add_i32 s14, s24, s14
	s_mul_i32 s1, s1, s15
	s_add_i32 s14, s14, s1
	s_mul_i32 s0, s0, s15
	s_mul_hi_u32 s24, s7, s0
	s_mul_i32 s25, s7, s0
	s_mul_i32 s27, s15, s14
	s_mul_hi_u32 s0, s15, s0
	s_mul_hi_u32 s26, s15, s14
	s_add_u32 s0, s0, s27
	s_addc_u32 s15, 0, s26
	s_add_u32 s0, s0, s25
	s_mul_hi_u32 s1, s7, s14
	s_addc_u32 s0, s15, s24
	s_addc_u32 s1, s1, 0
	s_mul_i32 s14, s7, s14
	s_add_u32 s0, s0, s14
	s_addc_u32 s1, 0, s1
	v_add_co_u32_e32 v1, vcc, s0, v1
	s_cmp_lg_u64 vcc, 0
	s_addc_u32 s7, s7, s1
	s_ashr_i32 s14, s21, 31
	s_add_u32 s0, s20, s14
	s_mov_b32 s15, s14
	s_addc_u32 s1, s21, s14
	s_xor_b64 s[24:25], s[0:1], s[14:15]
	v_readfirstlane_b32 s26, v1
	s_mul_i32 s1, s24, s7
	s_mul_hi_u32 s27, s24, s26
	s_mul_hi_u32 s0, s24, s7
	s_add_u32 s1, s27, s1
	s_addc_u32 s0, 0, s0
	s_mul_hi_u32 s28, s25, s26
	s_mul_i32 s26, s25, s26
	s_add_u32 s1, s1, s26
	s_mul_hi_u32 s27, s25, s7
	s_addc_u32 s0, s0, s28
	s_addc_u32 s1, s27, 0
	s_mul_i32 s7, s25, s7
	s_add_u32 s7, s0, s7
	s_addc_u32 s26, 0, s1
	s_mul_i32 s0, s12, s26
	s_mul_hi_u32 s1, s12, s7
	s_add_i32 s0, s1, s0
	s_mul_i32 s1, s13, s7
	s_add_i32 s27, s0, s1
	s_mul_i32 s1, s12, s7
	v_mov_b32_e32 v1, s1
	s_sub_i32 s0, s25, s27
	v_sub_co_u32_e32 v1, vcc, s24, v1
	s_cmp_lg_u64 vcc, 0
	s_subb_u32 s24, s0, s13
	v_subrev_co_u32_e64 v2, s[0:1], s12, v1
	s_cmp_lg_u64 s[0:1], 0
	s_subb_u32 s0, s24, 0
	s_cmp_ge_u32 s0, s13
	v_readfirstlane_b32 s24, v2
	s_cselect_b32 s1, -1, 0
	s_cmp_ge_u32 s24, s12
	s_cselect_b32 s24, -1, 0
	s_cmp_eq_u32 s0, s13
	s_cselect_b32 s0, s24, s1
	s_add_u32 s1, s7, 1
	s_addc_u32 s24, s26, 0
	s_add_u32 s28, s7, 2
	s_addc_u32 s29, s26, 0
	s_cmp_lg_u32 s0, 0
	s_cselect_b32 s0, s28, s1
	s_cselect_b32 s1, s29, s24
	s_cmp_lg_u64 vcc, 0
	s_subb_u32 s24, s25, s27
	s_cmp_ge_u32 s24, s13
	v_readfirstlane_b32 s27, v1
	s_cselect_b32 s25, -1, 0
	s_cmp_ge_u32 s27, s12
	s_cselect_b32 s12, -1, 0
	s_cmp_eq_u32 s24, s13
	s_cselect_b32 s12, s12, s25
	s_cmp_lg_u32 s12, 0
	s_cselect_b32 s1, s1, s26
	s_cselect_b32 s0, s0, s7
	s_xor_b64 s[10:11], s[14:15], s[10:11]
	s_xor_b64 s[0:1], s[0:1], s[10:11]
	s_sub_u32 s0, s0, s10
	s_subb_u32 s1, s1, s11
	s_cbranch_execnz .LBB8_4
.LBB8_3:
	v_cvt_f32_u32_e32 v1, s22
	s_sub_i32 s0, 0, s22
	s_mov_b32 s1, 0
	v_rcp_iflag_f32_e32 v1, v1
	v_mul_f32_e32 v1, 0x4f7ffffe, v1
	v_cvt_u32_f32_e32 v1, v1
	v_readfirstlane_b32 s7, v1
	s_mul_i32 s0, s0, s7
	s_mul_hi_u32 s0, s7, s0
	s_add_i32 s7, s7, s0
	s_mul_hi_u32 s0, s20, s7
	s_mul_i32 s8, s0, s22
	s_sub_i32 s8, s20, s8
	s_add_i32 s7, s0, 1
	s_sub_i32 s9, s8, s22
	s_cmp_ge_u32 s8, s22
	s_cselect_b32 s0, s7, s0
	s_cselect_b32 s8, s9, s8
	s_add_i32 s7, s0, 1
	s_cmp_ge_u32 s8, s22
	s_cselect_b32 s0, s7, s0
.LBB8_4:
	s_mul_i32 s24, s19, s18
	v_cmp_gt_i32_e32 vcc, s24, v0
	s_and_saveexec_b64 s[8:9], vcc
	s_cbranch_execz .LBB8_7
; %bb.5:
	s_mul_i32 s7, s0, s23
	s_mul_hi_u32 s23, s0, s22
	s_add_i32 s7, s23, s7
	s_mul_i32 s1, s1, s22
	s_add_i32 s26, s7, s1
	s_mul_i32 s27, s0, s22
	s_sub_u32 s20, s20, s27
	s_subb_u32 s21, s21, s26
	s_ashr_i32 s0, s16, 31
	s_mul_hi_u32 s1, s16, s6
	s_mul_i32 s0, s0, s6
	s_add_i32 s1, s1, s0
	s_mul_i32 s0, s16, s6
	s_abs_i32 s16, s3
	v_cvt_f32_u32_e32 v1, s16
	s_sub_i32 s25, 0, s16
	s_abs_i32 s23, s19
	s_ashr_i32 s7, s17, 31
	v_rcp_iflag_f32_e32 v1, v1
	s_mul_hi_u32 s22, s17, s6
	s_mul_i32 s7, s7, s6
	s_add_i32 s7, s22, s7
	v_mul_f32_e32 v1, 0x4f7ffffe, v1
	v_cvt_u32_f32_e32 v1, v1
	s_mul_i32 s6, s17, s6
	s_ashr_i32 s17, s19, 31
	s_ashr_i32 s22, s3, 31
	v_readfirstlane_b32 s30, v1
	s_mul_i32 s25, s25, s30
	s_mul_hi_u32 s25, s30, s25
	s_add_i32 s25, s30, s25
	s_mul_hi_u32 s30, s23, s25
	s_mul_i32 s31, s30, s16
	s_sub_i32 s31, s23, s31
	s_ashr_i32 s28, s18, 31
	s_xor_b32 s29, s17, s22
	s_add_i32 s33, s30, 1
	s_sub_i32 s34, s31, s16
	s_cmp_ge_u32 s31, s16
	s_cselect_b32 s30, s33, s30
	s_cselect_b32 s31, s34, s31
	s_add_i32 s33, s30, 1
	s_cmp_ge_u32 s31, s16
	s_mul_i32 s28, s27, s28
	s_mul_hi_u32 s31, s27, s18
	s_cselect_b32 s30, s33, s30
	s_mul_i32 s26, s26, s18
	s_add_i32 s28, s31, s28
	s_mul_i32 s27, s27, s18
	s_xor_b32 s30, s30, s29
	s_add_i32 s33, s28, s26
	s_mul_i32 s26, s27, s22
	s_mul_hi_u32 s28, s27, s3
	s_sub_i32 s30, s30, s29
	s_mul_i32 s18, s33, s3
	s_add_i32 s26, s28, s26
	s_ashr_i32 s29, s30, 31
	s_add_i32 s18, s26, s18
	s_mul_i32 s26, s27, s3
	s_mul_i32 s28, s26, s29
	s_mul_hi_u32 s29, s26, s30
	s_load_dwordx8 s[8:15], s[4:5], 0x0
	s_add_i32 s28, s29, s28
	s_mul_i32 s18, s18, s30
	v_cvt_f32_u32_e32 v1, s23
	s_add_i32 s29, s28, s18
	s_mul_i32 s18, s3, s2
	s_mul_i32 s28, s26, s30
	;; [unrolled: 1-line block ×4, first 2 shown]
	s_mul_hi_u32 s31, s20, s3
	s_mul_i32 s34, s27, s17
	s_mul_hi_u32 s35, s27, s19
	s_add_i32 s30, s31, s30
	s_mul_i32 s31, s21, s3
	s_mul_i32 s33, s33, s19
	s_add_i32 s34, s35, s34
	s_add_i32 s31, s30, s31
	;; [unrolled: 1-line block ×3, first 2 shown]
	s_lshl_b64 s[0:1], s[0:1], 2
	v_rcp_iflag_f32_e32 v1, v1
	s_waitcnt lgkmcnt(0)
	s_add_u32 s8, s8, s0
	s_mul_i32 s34, s27, s19
	s_addc_u32 s27, s9, s1
	s_lshl_b64 s[0:1], s[6:7], 2
	s_add_u32 s9, s10, s0
	s_addc_u32 s6, s11, s1
	s_lshl_b64 s[0:1], s[28:29], 2
	v_mul_f32_e32 v1, 0x4f7ffffe, v1
	s_add_u32 s10, s12, s0
	s_load_dword s4, s[4:5], 0x5c
	v_cvt_u32_f32_e32 v1, v1
	s_addc_u32 s7, s13, s1
	s_lshl_b64 s[0:1], s[34:35], 2
	s_add_u32 s11, s14, s0
	s_addc_u32 s14, s15, s1
	s_sub_i32 s0, 0, s23
	s_mul_i32 s30, s20, s3
	v_mul_lo_u32 v2, s0, v1
	s_waitcnt lgkmcnt(0)
	s_and_b32 s12, s4, 0xffff
	v_mul_hi_u32 v2, v1, v2
	v_mov_b32_e32 v4, s6
	v_mov_b32_e32 v5, s7
	s_lshl_b64 s[4:5], s[30:31], 2
	s_lshl_b64 s[6:7], s[20:21], 2
	v_add_u32_e32 v2, v1, v2
	s_sub_i32 s13, 0, s19
	s_sub_i32 s3, 0, s3
	s_mov_b64 s[0:1], 0
	v_mov_b32_e32 v3, s27
	v_mov_b32_e32 v6, s5
	;; [unrolled: 1-line block ×4, first 2 shown]
.LBB8_6:                                ; =>This Inner Loop Header: Depth=1
	v_ashrrev_i32_e32 v1, 31, v0
	v_lshlrev_b64 v[10:11], 2, v[0:1]
	v_add_co_u32_e32 v12, vcc, s8, v10
	v_addc_co_u32_e32 v13, vcc, v3, v11, vcc
	global_load_dword v9, v[12:13], off
	v_add_co_u32_e32 v10, vcc, s9, v10
	v_addc_co_u32_e32 v11, vcc, v4, v11, vcc
	global_load_dword v18, v[10:11], off
	v_sub_u32_e32 v12, 0, v0
	v_max_i32_e32 v12, v0, v12
	v_mul_hi_u32 v14, v12, v2
	v_mul_lo_u32 v15, v14, s23
	v_sub_u32_e32 v10, v12, v15
	v_add_u32_e32 v16, 1, v14
	v_cmp_le_u32_e32 vcc, s23, v10
	v_subrev_u32_e32 v12, s23, v10
	v_cndmask_b32_e32 v11, v14, v16, vcc
	v_cndmask_b32_e32 v10, v10, v12, vcc
	v_add_u32_e32 v12, 1, v11
	v_cmp_le_u32_e32 vcc, s23, v10
	v_xor_b32_e32 v13, s17, v1
	v_cndmask_b32_e32 v10, v11, v12, vcc
	v_xor_b32_e32 v10, v10, v13
	v_sub_u32_e32 v12, v10, v13
	v_mad_u64_u32 v[10:11], s[14:15], s13, v12, v[0:1]
	v_mul_lo_u32 v15, v12, s19
	v_mul_lo_u32 v12, s26, v12
	v_ashrrev_i32_e32 v1, 31, v10
	v_ashrrev_i32_e32 v13, 31, v12
	v_sub_u32_e32 v19, v1, v15
	v_mul_lo_u32 v14, v15, s2
	v_lshlrev_b64 v[12:13], 2, v[12:13]
	v_add_u32_e32 v19, v0, v19
	v_xor_b32_e32 v11, s22, v1
	v_ashrrev_i32_e32 v15, 31, v14
	v_add_co_u32_e32 v20, vcc, s10, v12
	v_xor_b32_e32 v1, v19, v1
	v_addc_co_u32_e32 v21, vcc, v5, v13, vcc
	v_lshlrev_b64 v[12:13], 2, v[14:15]
	v_mul_hi_u32 v14, v1, s25
	v_mul_lo_u32 v15, v14, s16
	v_sub_u32_e32 v1, v1, v15
	v_add_u32_e32 v19, 1, v14
	v_cmp_le_u32_e32 vcc, s16, v1
	v_subrev_u32_e32 v15, s16, v1
	v_cndmask_b32_e32 v14, v14, v19, vcc
	v_cndmask_b32_e32 v1, v1, v15, vcc
	v_add_u32_e32 v15, 1, v14
	v_cmp_le_u32_e32 vcc, s16, v1
	v_cndmask_b32_e32 v1, v14, v15, vcc
	v_xor_b32_e32 v1, v1, v11
	v_sub_u32_e32 v1, v1, v11
	v_mul_lo_u32 v14, s18, v1
	v_ashrrev_i32_e32 v15, 31, v14
	v_lshlrev_b64 v[14:15], 2, v[14:15]
	v_mul_lo_u32 v16, v10, s2
	v_mad_u64_u32 v[10:11], s[14:15], s3, v1, v[10:11]
	v_add_co_u32_e32 v1, vcc, v20, v14
	v_addc_co_u32_e32 v14, vcc, v21, v15, vcc
	v_ashrrev_i32_e32 v11, 31, v10
	v_add_co_u32_e32 v1, vcc, s4, v1
	v_lshlrev_b64 v[10:11], 2, v[10:11]
	v_addc_co_u32_e32 v14, vcc, v14, v6, vcc
	v_add_co_u32_e32 v10, vcc, v1, v10
	v_addc_co_u32_e32 v11, vcc, v14, v11, vcc
	v_ashrrev_i32_e32 v17, 31, v16
	v_add_co_u32_e32 v1, vcc, s11, v12
	v_add_u32_e32 v0, s12, v0
	s_waitcnt vmcnt(1)
	global_store_dword v[10:11], v9, off
	v_addc_co_u32_e32 v9, vcc, v7, v13, vcc
	v_lshlrev_b64 v[10:11], 2, v[16:17]
	v_add_co_u32_e32 v1, vcc, v1, v10
	v_addc_co_u32_e32 v9, vcc, v9, v11, vcc
	v_add_co_u32_e32 v10, vcc, s6, v1
	v_addc_co_u32_e32 v11, vcc, v9, v8, vcc
	v_cmp_le_i32_e32 vcc, s24, v0
	s_or_b64 s[0:1], vcc, s[0:1]
	s_waitcnt vmcnt(1)
	global_store_dword v[10:11], v18, off
	s_andn2_b64 exec, exec, s[0:1]
	s_cbranch_execnz .LBB8_6
.LBB8_7:
	s_endpgm
.LBB8_8:
                                        ; implicit-def: $sgpr0_sgpr1
	s_branch .LBB8_3
	.section	.rodata,"a",@progbits
	.p2align	6, 0x0
	.amdhsa_kernel _ZN4vllm24reshape_and_cache_kernelIffLNS_18Fp8KVCacheDataTypeE0EEEvPKT_S4_PT0_S6_PKliiiiiiPKfSA_
		.amdhsa_group_segment_fixed_size 0
		.amdhsa_private_segment_fixed_size 0
		.amdhsa_kernarg_size 336
		.amdhsa_user_sgpr_count 6
		.amdhsa_user_sgpr_private_segment_buffer 1
		.amdhsa_user_sgpr_dispatch_ptr 0
		.amdhsa_user_sgpr_queue_ptr 0
		.amdhsa_user_sgpr_kernarg_segment_ptr 1
		.amdhsa_user_sgpr_dispatch_id 0
		.amdhsa_user_sgpr_flat_scratch_init 0
		.amdhsa_user_sgpr_kernarg_preload_length 0
		.amdhsa_user_sgpr_kernarg_preload_offset 0
		.amdhsa_user_sgpr_private_segment_size 0
		.amdhsa_uses_dynamic_stack 0
		.amdhsa_system_sgpr_private_segment_wavefront_offset 0
		.amdhsa_system_sgpr_workgroup_id_x 1
		.amdhsa_system_sgpr_workgroup_id_y 0
		.amdhsa_system_sgpr_workgroup_id_z 0
		.amdhsa_system_sgpr_workgroup_info 0
		.amdhsa_system_vgpr_workitem_id 0
		.amdhsa_next_free_vgpr 22
		.amdhsa_next_free_sgpr 36
		.amdhsa_accum_offset 24
		.amdhsa_reserve_vcc 1
		.amdhsa_reserve_flat_scratch 0
		.amdhsa_float_round_mode_32 0
		.amdhsa_float_round_mode_16_64 0
		.amdhsa_float_denorm_mode_32 3
		.amdhsa_float_denorm_mode_16_64 3
		.amdhsa_dx10_clamp 1
		.amdhsa_ieee_mode 1
		.amdhsa_fp16_overflow 0
		.amdhsa_tg_split 0
		.amdhsa_exception_fp_ieee_invalid_op 0
		.amdhsa_exception_fp_denorm_src 0
		.amdhsa_exception_fp_ieee_div_zero 0
		.amdhsa_exception_fp_ieee_overflow 0
		.amdhsa_exception_fp_ieee_underflow 0
		.amdhsa_exception_fp_ieee_inexact 0
		.amdhsa_exception_int_div_zero 0
	.end_amdhsa_kernel
	.section	.text._ZN4vllm24reshape_and_cache_kernelIffLNS_18Fp8KVCacheDataTypeE0EEEvPKT_S4_PT0_S6_PKliiiiiiPKfSA_,"axG",@progbits,_ZN4vllm24reshape_and_cache_kernelIffLNS_18Fp8KVCacheDataTypeE0EEEvPKT_S4_PT0_S6_PKliiiiiiPKfSA_,comdat
.Lfunc_end8:
	.size	_ZN4vllm24reshape_and_cache_kernelIffLNS_18Fp8KVCacheDataTypeE0EEEvPKT_S4_PT0_S6_PKliiiiiiPKfSA_, .Lfunc_end8-_ZN4vllm24reshape_and_cache_kernelIffLNS_18Fp8KVCacheDataTypeE0EEEvPKT_S4_PT0_S6_PKliiiiiiPKfSA_
                                        ; -- End function
	.section	.AMDGPU.csdata,"",@progbits
; Kernel info:
; codeLenInByte = 1664
; NumSgprs: 40
; NumVgprs: 22
; NumAgprs: 0
; TotalNumVgprs: 22
; ScratchSize: 0
; MemoryBound: 0
; FloatMode: 240
; IeeeMode: 1
; LDSByteSize: 0 bytes/workgroup (compile time only)
; SGPRBlocks: 4
; VGPRBlocks: 2
; NumSGPRsForWavesPerEU: 40
; NumVGPRsForWavesPerEU: 22
; AccumOffset: 24
; Occupancy: 8
; WaveLimiterHint : 0
; COMPUTE_PGM_RSRC2:SCRATCH_EN: 0
; COMPUTE_PGM_RSRC2:USER_SGPR: 6
; COMPUTE_PGM_RSRC2:TRAP_HANDLER: 0
; COMPUTE_PGM_RSRC2:TGID_X_EN: 1
; COMPUTE_PGM_RSRC2:TGID_Y_EN: 0
; COMPUTE_PGM_RSRC2:TGID_Z_EN: 0
; COMPUTE_PGM_RSRC2:TIDIG_COMP_CNT: 0
; COMPUTE_PGM_RSRC3_GFX90A:ACCUM_OFFSET: 5
; COMPUTE_PGM_RSRC3_GFX90A:TG_SPLIT: 0
	.section	.text._ZN4vllm24reshape_and_cache_kernelIttLNS_18Fp8KVCacheDataTypeE0EEEvPKT_S4_PT0_S6_PKliiiiiiPKfSA_,"axG",@progbits,_ZN4vllm24reshape_and_cache_kernelIttLNS_18Fp8KVCacheDataTypeE0EEEvPKT_S4_PT0_S6_PKliiiiiiPKfSA_,comdat
	.protected	_ZN4vllm24reshape_and_cache_kernelIttLNS_18Fp8KVCacheDataTypeE0EEEvPKT_S4_PT0_S6_PKliiiiiiPKfSA_ ; -- Begin function _ZN4vllm24reshape_and_cache_kernelIttLNS_18Fp8KVCacheDataTypeE0EEEvPKT_S4_PT0_S6_PKliiiiiiPKfSA_
	.globl	_ZN4vllm24reshape_and_cache_kernelIttLNS_18Fp8KVCacheDataTypeE0EEEvPKT_S4_PT0_S6_PKliiiiiiPKfSA_
	.p2align	8
	.type	_ZN4vllm24reshape_and_cache_kernelIttLNS_18Fp8KVCacheDataTypeE0EEEvPKT_S4_PT0_S6_PKliiiiiiPKfSA_,@function
_ZN4vllm24reshape_and_cache_kernelIttLNS_18Fp8KVCacheDataTypeE0EEEvPKT_S4_PT0_S6_PKliiiiiiPKfSA_: ; @_ZN4vllm24reshape_and_cache_kernelIttLNS_18Fp8KVCacheDataTypeE0EEEvPKT_S4_PT0_S6_PKliiiiiiPKfSA_
; %bb.0:
	s_load_dwordx2 s[0:1], s[4:5], 0x20
	s_mov_b32 s7, 0
	s_lshl_b64 s[2:3], s[6:7], 3
	s_waitcnt lgkmcnt(0)
	s_add_u32 s0, s0, s2
	s_addc_u32 s1, s1, s3
	s_load_dwordx2 s[20:21], s[0:1], 0x0
	s_waitcnt lgkmcnt(0)
	v_cmp_lt_i64_e64 s[0:1], s[20:21], 0
	s_and_b64 vcc, exec, s[0:1]
	s_cbranch_vccnz .LBB9_7
; %bb.1:
	s_load_dwordx2 s[2:3], s[4:5], 0x38
	s_load_dwordx4 s[16:19], s[4:5], 0x28
	s_waitcnt lgkmcnt(0)
	s_ashr_i32 s23, s2, 31
	s_mov_b32 s22, s2
	s_or_b64 s[0:1], s[20:21], s[22:23]
	s_mov_b32 s0, s7
	s_cmp_lg_u64 s[0:1], 0
	s_cbranch_scc0 .LBB9_8
; %bb.2:
	s_add_u32 s0, s22, s23
	s_mov_b32 s10, s23
	s_mov_b32 s11, s23
	s_addc_u32 s1, s23, s23
	s_xor_b64 s[12:13], s[0:1], s[10:11]
	v_cvt_f32_u32_e32 v1, s12
	v_cvt_f32_u32_e32 v2, s13
	s_sub_u32 s0, 0, s12
	s_subb_u32 s1, 0, s13
	v_madmk_f32 v1, v2, 0x4f800000, v1
	v_rcp_f32_e32 v1, v1
	v_mul_f32_e32 v1, 0x5f7ffffc, v1
	v_mul_f32_e32 v2, 0x2f800000, v1
	v_trunc_f32_e32 v2, v2
	v_madmk_f32 v1, v2, 0xcf800000, v1
	v_cvt_u32_f32_e32 v2, v2
	v_cvt_u32_f32_e32 v1, v1
	v_readfirstlane_b32 s7, v2
	v_readfirstlane_b32 s14, v1
	s_mul_i32 s15, s0, s7
	s_mul_hi_u32 s25, s0, s14
	s_mul_i32 s24, s1, s14
	s_add_i32 s15, s25, s15
	s_add_i32 s15, s15, s24
	s_mul_i32 s26, s0, s14
	s_mul_hi_u32 s24, s14, s15
	s_mul_i32 s25, s14, s15
	s_mul_hi_u32 s14, s14, s26
	s_add_u32 s14, s14, s25
	s_addc_u32 s24, 0, s24
	s_mul_hi_u32 s27, s7, s26
	s_mul_i32 s26, s7, s26
	s_add_u32 s14, s14, s26
	s_mul_hi_u32 s25, s7, s15
	s_addc_u32 s14, s24, s27
	s_addc_u32 s24, s25, 0
	s_mul_i32 s15, s7, s15
	s_add_u32 s14, s14, s15
	s_addc_u32 s15, 0, s24
	v_add_co_u32_e32 v1, vcc, s14, v1
	s_cmp_lg_u64 vcc, 0
	s_addc_u32 s7, s7, s15
	v_readfirstlane_b32 s15, v1
	s_mul_i32 s14, s0, s7
	s_mul_hi_u32 s24, s0, s15
	s_add_i32 s14, s24, s14
	s_mul_i32 s1, s1, s15
	s_add_i32 s14, s14, s1
	s_mul_i32 s0, s0, s15
	s_mul_hi_u32 s24, s7, s0
	s_mul_i32 s25, s7, s0
	s_mul_i32 s27, s15, s14
	s_mul_hi_u32 s0, s15, s0
	s_mul_hi_u32 s26, s15, s14
	s_add_u32 s0, s0, s27
	s_addc_u32 s15, 0, s26
	s_add_u32 s0, s0, s25
	s_mul_hi_u32 s1, s7, s14
	s_addc_u32 s0, s15, s24
	s_addc_u32 s1, s1, 0
	s_mul_i32 s14, s7, s14
	s_add_u32 s0, s0, s14
	s_addc_u32 s1, 0, s1
	v_add_co_u32_e32 v1, vcc, s0, v1
	s_cmp_lg_u64 vcc, 0
	s_addc_u32 s7, s7, s1
	s_ashr_i32 s14, s21, 31
	s_add_u32 s0, s20, s14
	s_mov_b32 s15, s14
	s_addc_u32 s1, s21, s14
	s_xor_b64 s[24:25], s[0:1], s[14:15]
	v_readfirstlane_b32 s26, v1
	s_mul_i32 s1, s24, s7
	s_mul_hi_u32 s27, s24, s26
	s_mul_hi_u32 s0, s24, s7
	s_add_u32 s1, s27, s1
	s_addc_u32 s0, 0, s0
	s_mul_hi_u32 s28, s25, s26
	s_mul_i32 s26, s25, s26
	s_add_u32 s1, s1, s26
	s_mul_hi_u32 s27, s25, s7
	s_addc_u32 s0, s0, s28
	s_addc_u32 s1, s27, 0
	s_mul_i32 s7, s25, s7
	s_add_u32 s7, s0, s7
	s_addc_u32 s26, 0, s1
	s_mul_i32 s0, s12, s26
	s_mul_hi_u32 s1, s12, s7
	s_add_i32 s0, s1, s0
	s_mul_i32 s1, s13, s7
	s_add_i32 s27, s0, s1
	s_mul_i32 s1, s12, s7
	v_mov_b32_e32 v1, s1
	s_sub_i32 s0, s25, s27
	v_sub_co_u32_e32 v1, vcc, s24, v1
	s_cmp_lg_u64 vcc, 0
	s_subb_u32 s24, s0, s13
	v_subrev_co_u32_e64 v2, s[0:1], s12, v1
	s_cmp_lg_u64 s[0:1], 0
	s_subb_u32 s0, s24, 0
	s_cmp_ge_u32 s0, s13
	v_readfirstlane_b32 s24, v2
	s_cselect_b32 s1, -1, 0
	s_cmp_ge_u32 s24, s12
	s_cselect_b32 s24, -1, 0
	s_cmp_eq_u32 s0, s13
	s_cselect_b32 s0, s24, s1
	s_add_u32 s1, s7, 1
	s_addc_u32 s24, s26, 0
	s_add_u32 s28, s7, 2
	s_addc_u32 s29, s26, 0
	s_cmp_lg_u32 s0, 0
	s_cselect_b32 s0, s28, s1
	s_cselect_b32 s1, s29, s24
	s_cmp_lg_u64 vcc, 0
	s_subb_u32 s24, s25, s27
	s_cmp_ge_u32 s24, s13
	v_readfirstlane_b32 s27, v1
	s_cselect_b32 s25, -1, 0
	s_cmp_ge_u32 s27, s12
	s_cselect_b32 s12, -1, 0
	s_cmp_eq_u32 s24, s13
	s_cselect_b32 s12, s12, s25
	s_cmp_lg_u32 s12, 0
	s_cselect_b32 s1, s1, s26
	s_cselect_b32 s0, s0, s7
	s_xor_b64 s[10:11], s[14:15], s[10:11]
	s_xor_b64 s[0:1], s[0:1], s[10:11]
	s_sub_u32 s0, s0, s10
	s_subb_u32 s1, s1, s11
	s_cbranch_execnz .LBB9_4
.LBB9_3:
	v_cvt_f32_u32_e32 v1, s22
	s_sub_i32 s0, 0, s22
	s_mov_b32 s1, 0
	v_rcp_iflag_f32_e32 v1, v1
	v_mul_f32_e32 v1, 0x4f7ffffe, v1
	v_cvt_u32_f32_e32 v1, v1
	v_readfirstlane_b32 s7, v1
	s_mul_i32 s0, s0, s7
	s_mul_hi_u32 s0, s7, s0
	s_add_i32 s7, s7, s0
	s_mul_hi_u32 s0, s20, s7
	s_mul_i32 s8, s0, s22
	s_sub_i32 s8, s20, s8
	s_add_i32 s7, s0, 1
	s_sub_i32 s9, s8, s22
	s_cmp_ge_u32 s8, s22
	s_cselect_b32 s0, s7, s0
	s_cselect_b32 s8, s9, s8
	s_add_i32 s7, s0, 1
	s_cmp_ge_u32 s8, s22
	s_cselect_b32 s0, s7, s0
.LBB9_4:
	s_mul_i32 s24, s19, s18
	v_cmp_gt_i32_e32 vcc, s24, v0
	s_and_saveexec_b64 s[8:9], vcc
	s_cbranch_execz .LBB9_7
; %bb.5:
	s_mul_i32 s7, s0, s23
	s_mul_hi_u32 s23, s0, s22
	s_add_i32 s7, s23, s7
	s_mul_i32 s1, s1, s22
	s_add_i32 s26, s7, s1
	s_mul_i32 s27, s0, s22
	s_sub_u32 s20, s20, s27
	s_subb_u32 s21, s21, s26
	s_ashr_i32 s0, s16, 31
	s_mul_hi_u32 s1, s16, s6
	s_mul_i32 s0, s0, s6
	s_add_i32 s1, s1, s0
	s_mul_i32 s0, s16, s6
	s_abs_i32 s16, s3
	v_cvt_f32_u32_e32 v1, s16
	s_sub_i32 s25, 0, s16
	s_abs_i32 s23, s19
	s_ashr_i32 s7, s17, 31
	v_rcp_iflag_f32_e32 v1, v1
	s_mul_hi_u32 s22, s17, s6
	s_mul_i32 s7, s7, s6
	s_add_i32 s7, s22, s7
	v_mul_f32_e32 v1, 0x4f7ffffe, v1
	v_cvt_u32_f32_e32 v1, v1
	s_mul_i32 s6, s17, s6
	s_ashr_i32 s17, s19, 31
	s_ashr_i32 s22, s3, 31
	v_readfirstlane_b32 s30, v1
	s_mul_i32 s25, s25, s30
	s_mul_hi_u32 s25, s30, s25
	s_add_i32 s25, s30, s25
	s_mul_hi_u32 s30, s23, s25
	s_mul_i32 s31, s30, s16
	s_sub_i32 s31, s23, s31
	s_ashr_i32 s28, s18, 31
	s_xor_b32 s29, s17, s22
	s_add_i32 s33, s30, 1
	s_sub_i32 s34, s31, s16
	s_cmp_ge_u32 s31, s16
	s_cselect_b32 s30, s33, s30
	s_cselect_b32 s31, s34, s31
	s_add_i32 s33, s30, 1
	s_cmp_ge_u32 s31, s16
	s_mul_i32 s28, s27, s28
	s_mul_hi_u32 s31, s27, s18
	s_cselect_b32 s30, s33, s30
	s_mul_i32 s26, s26, s18
	s_add_i32 s28, s31, s28
	s_mul_i32 s27, s27, s18
	s_xor_b32 s30, s30, s29
	s_add_i32 s33, s28, s26
	s_mul_i32 s26, s27, s22
	s_mul_hi_u32 s28, s27, s3
	s_sub_i32 s30, s30, s29
	s_mul_i32 s18, s33, s3
	s_add_i32 s26, s28, s26
	s_ashr_i32 s29, s30, 31
	s_add_i32 s18, s26, s18
	s_mul_i32 s26, s27, s3
	s_mul_i32 s28, s26, s29
	s_mul_hi_u32 s29, s26, s30
	s_load_dwordx8 s[8:15], s[4:5], 0x0
	s_add_i32 s28, s29, s28
	s_mul_i32 s18, s18, s30
	v_cvt_f32_u32_e32 v1, s23
	s_add_i32 s29, s28, s18
	s_mul_i32 s18, s3, s2
	s_mul_i32 s28, s26, s30
	;; [unrolled: 1-line block ×4, first 2 shown]
	s_mul_hi_u32 s31, s20, s3
	s_mul_i32 s34, s27, s17
	s_mul_hi_u32 s35, s27, s19
	s_add_i32 s30, s31, s30
	s_mul_i32 s31, s21, s3
	s_mul_i32 s33, s33, s19
	s_add_i32 s34, s35, s34
	s_add_i32 s31, s30, s31
	;; [unrolled: 1-line block ×3, first 2 shown]
	s_lshl_b64 s[0:1], s[0:1], 1
	v_rcp_iflag_f32_e32 v1, v1
	s_waitcnt lgkmcnt(0)
	s_add_u32 s8, s8, s0
	s_mul_i32 s34, s27, s19
	s_addc_u32 s27, s9, s1
	s_lshl_b64 s[0:1], s[6:7], 1
	s_add_u32 s9, s10, s0
	s_addc_u32 s6, s11, s1
	s_lshl_b64 s[0:1], s[28:29], 1
	v_mul_f32_e32 v1, 0x4f7ffffe, v1
	s_add_u32 s10, s12, s0
	s_load_dword s4, s[4:5], 0x5c
	v_cvt_u32_f32_e32 v1, v1
	s_addc_u32 s7, s13, s1
	s_lshl_b64 s[0:1], s[34:35], 1
	s_add_u32 s11, s14, s0
	s_addc_u32 s14, s15, s1
	s_sub_i32 s0, 0, s23
	s_mul_i32 s30, s20, s3
	v_mul_lo_u32 v2, s0, v1
	s_waitcnt lgkmcnt(0)
	s_and_b32 s12, s4, 0xffff
	v_mul_hi_u32 v2, v1, v2
	v_mov_b32_e32 v4, s6
	v_mov_b32_e32 v5, s7
	s_lshl_b64 s[4:5], s[30:31], 1
	s_lshl_b64 s[6:7], s[20:21], 1
	v_add_u32_e32 v2, v1, v2
	s_sub_i32 s13, 0, s19
	s_sub_i32 s3, 0, s3
	s_mov_b64 s[0:1], 0
	v_mov_b32_e32 v3, s27
	v_mov_b32_e32 v6, s5
	;; [unrolled: 1-line block ×4, first 2 shown]
.LBB9_6:                                ; =>This Inner Loop Header: Depth=1
	v_ashrrev_i32_e32 v1, 31, v0
	v_lshlrev_b64 v[10:11], 1, v[0:1]
	v_add_co_u32_e32 v12, vcc, s8, v10
	v_addc_co_u32_e32 v13, vcc, v3, v11, vcc
	global_load_ushort v9, v[12:13], off
	v_add_co_u32_e32 v10, vcc, s9, v10
	v_addc_co_u32_e32 v11, vcc, v4, v11, vcc
	global_load_ushort v18, v[10:11], off
	v_sub_u32_e32 v12, 0, v0
	v_max_i32_e32 v12, v0, v12
	v_mul_hi_u32 v14, v12, v2
	v_mul_lo_u32 v15, v14, s23
	v_sub_u32_e32 v10, v12, v15
	v_add_u32_e32 v16, 1, v14
	v_cmp_le_u32_e32 vcc, s23, v10
	v_subrev_u32_e32 v12, s23, v10
	v_cndmask_b32_e32 v11, v14, v16, vcc
	v_cndmask_b32_e32 v10, v10, v12, vcc
	v_add_u32_e32 v12, 1, v11
	v_cmp_le_u32_e32 vcc, s23, v10
	v_xor_b32_e32 v13, s17, v1
	v_cndmask_b32_e32 v10, v11, v12, vcc
	v_xor_b32_e32 v10, v10, v13
	v_sub_u32_e32 v12, v10, v13
	v_mad_u64_u32 v[10:11], s[14:15], s13, v12, v[0:1]
	v_mul_lo_u32 v15, v12, s19
	v_mul_lo_u32 v12, s26, v12
	v_ashrrev_i32_e32 v1, 31, v10
	v_ashrrev_i32_e32 v13, 31, v12
	v_sub_u32_e32 v19, v1, v15
	v_mul_lo_u32 v14, v15, s2
	v_lshlrev_b64 v[12:13], 1, v[12:13]
	v_add_u32_e32 v19, v0, v19
	v_xor_b32_e32 v11, s22, v1
	v_ashrrev_i32_e32 v15, 31, v14
	v_add_co_u32_e32 v20, vcc, s10, v12
	v_xor_b32_e32 v1, v19, v1
	v_addc_co_u32_e32 v21, vcc, v5, v13, vcc
	v_lshlrev_b64 v[12:13], 1, v[14:15]
	v_mul_hi_u32 v14, v1, s25
	v_mul_lo_u32 v15, v14, s16
	v_sub_u32_e32 v1, v1, v15
	v_add_u32_e32 v19, 1, v14
	v_cmp_le_u32_e32 vcc, s16, v1
	v_subrev_u32_e32 v15, s16, v1
	v_cndmask_b32_e32 v14, v14, v19, vcc
	v_cndmask_b32_e32 v1, v1, v15, vcc
	v_add_u32_e32 v15, 1, v14
	v_cmp_le_u32_e32 vcc, s16, v1
	v_cndmask_b32_e32 v1, v14, v15, vcc
	v_xor_b32_e32 v1, v1, v11
	v_sub_u32_e32 v1, v1, v11
	v_mul_lo_u32 v14, s18, v1
	v_ashrrev_i32_e32 v15, 31, v14
	v_lshlrev_b64 v[14:15], 1, v[14:15]
	v_mul_lo_u32 v16, v10, s2
	v_mad_u64_u32 v[10:11], s[14:15], s3, v1, v[10:11]
	v_add_co_u32_e32 v1, vcc, v20, v14
	v_addc_co_u32_e32 v14, vcc, v21, v15, vcc
	v_ashrrev_i32_e32 v11, 31, v10
	v_add_co_u32_e32 v1, vcc, s4, v1
	v_lshlrev_b64 v[10:11], 1, v[10:11]
	v_addc_co_u32_e32 v14, vcc, v14, v6, vcc
	v_add_co_u32_e32 v10, vcc, v1, v10
	v_addc_co_u32_e32 v11, vcc, v14, v11, vcc
	v_ashrrev_i32_e32 v17, 31, v16
	v_add_co_u32_e32 v1, vcc, s11, v12
	v_add_u32_e32 v0, s12, v0
	s_waitcnt vmcnt(1)
	global_store_short v[10:11], v9, off
	v_addc_co_u32_e32 v9, vcc, v7, v13, vcc
	v_lshlrev_b64 v[10:11], 1, v[16:17]
	v_add_co_u32_e32 v1, vcc, v1, v10
	v_addc_co_u32_e32 v9, vcc, v9, v11, vcc
	v_add_co_u32_e32 v10, vcc, s6, v1
	v_addc_co_u32_e32 v11, vcc, v9, v8, vcc
	v_cmp_le_i32_e32 vcc, s24, v0
	s_or_b64 s[0:1], vcc, s[0:1]
	s_waitcnt vmcnt(1)
	global_store_short v[10:11], v18, off
	s_andn2_b64 exec, exec, s[0:1]
	s_cbranch_execnz .LBB9_6
.LBB9_7:
	s_endpgm
.LBB9_8:
                                        ; implicit-def: $sgpr0_sgpr1
	s_branch .LBB9_3
	.section	.rodata,"a",@progbits
	.p2align	6, 0x0
	.amdhsa_kernel _ZN4vllm24reshape_and_cache_kernelIttLNS_18Fp8KVCacheDataTypeE0EEEvPKT_S4_PT0_S6_PKliiiiiiPKfSA_
		.amdhsa_group_segment_fixed_size 0
		.amdhsa_private_segment_fixed_size 0
		.amdhsa_kernarg_size 336
		.amdhsa_user_sgpr_count 6
		.amdhsa_user_sgpr_private_segment_buffer 1
		.amdhsa_user_sgpr_dispatch_ptr 0
		.amdhsa_user_sgpr_queue_ptr 0
		.amdhsa_user_sgpr_kernarg_segment_ptr 1
		.amdhsa_user_sgpr_dispatch_id 0
		.amdhsa_user_sgpr_flat_scratch_init 0
		.amdhsa_user_sgpr_kernarg_preload_length 0
		.amdhsa_user_sgpr_kernarg_preload_offset 0
		.amdhsa_user_sgpr_private_segment_size 0
		.amdhsa_uses_dynamic_stack 0
		.amdhsa_system_sgpr_private_segment_wavefront_offset 0
		.amdhsa_system_sgpr_workgroup_id_x 1
		.amdhsa_system_sgpr_workgroup_id_y 0
		.amdhsa_system_sgpr_workgroup_id_z 0
		.amdhsa_system_sgpr_workgroup_info 0
		.amdhsa_system_vgpr_workitem_id 0
		.amdhsa_next_free_vgpr 22
		.amdhsa_next_free_sgpr 36
		.amdhsa_accum_offset 24
		.amdhsa_reserve_vcc 1
		.amdhsa_reserve_flat_scratch 0
		.amdhsa_float_round_mode_32 0
		.amdhsa_float_round_mode_16_64 0
		.amdhsa_float_denorm_mode_32 3
		.amdhsa_float_denorm_mode_16_64 3
		.amdhsa_dx10_clamp 1
		.amdhsa_ieee_mode 1
		.amdhsa_fp16_overflow 0
		.amdhsa_tg_split 0
		.amdhsa_exception_fp_ieee_invalid_op 0
		.amdhsa_exception_fp_denorm_src 0
		.amdhsa_exception_fp_ieee_div_zero 0
		.amdhsa_exception_fp_ieee_overflow 0
		.amdhsa_exception_fp_ieee_underflow 0
		.amdhsa_exception_fp_ieee_inexact 0
		.amdhsa_exception_int_div_zero 0
	.end_amdhsa_kernel
	.section	.text._ZN4vllm24reshape_and_cache_kernelIttLNS_18Fp8KVCacheDataTypeE0EEEvPKT_S4_PT0_S6_PKliiiiiiPKfSA_,"axG",@progbits,_ZN4vllm24reshape_and_cache_kernelIttLNS_18Fp8KVCacheDataTypeE0EEEvPKT_S4_PT0_S6_PKliiiiiiPKfSA_,comdat
.Lfunc_end9:
	.size	_ZN4vllm24reshape_and_cache_kernelIttLNS_18Fp8KVCacheDataTypeE0EEEvPKT_S4_PT0_S6_PKliiiiiiPKfSA_, .Lfunc_end9-_ZN4vllm24reshape_and_cache_kernelIttLNS_18Fp8KVCacheDataTypeE0EEEvPKT_S4_PT0_S6_PKliiiiiiPKfSA_
                                        ; -- End function
	.section	.AMDGPU.csdata,"",@progbits
; Kernel info:
; codeLenInByte = 1664
; NumSgprs: 40
; NumVgprs: 22
; NumAgprs: 0
; TotalNumVgprs: 22
; ScratchSize: 0
; MemoryBound: 0
; FloatMode: 240
; IeeeMode: 1
; LDSByteSize: 0 bytes/workgroup (compile time only)
; SGPRBlocks: 4
; VGPRBlocks: 2
; NumSGPRsForWavesPerEU: 40
; NumVGPRsForWavesPerEU: 22
; AccumOffset: 24
; Occupancy: 8
; WaveLimiterHint : 0
; COMPUTE_PGM_RSRC2:SCRATCH_EN: 0
; COMPUTE_PGM_RSRC2:USER_SGPR: 6
; COMPUTE_PGM_RSRC2:TRAP_HANDLER: 0
; COMPUTE_PGM_RSRC2:TGID_X_EN: 1
; COMPUTE_PGM_RSRC2:TGID_Y_EN: 0
; COMPUTE_PGM_RSRC2:TGID_Z_EN: 0
; COMPUTE_PGM_RSRC2:TIDIG_COMP_CNT: 0
; COMPUTE_PGM_RSRC3_GFX90A:ACCUM_OFFSET: 5
; COMPUTE_PGM_RSRC3_GFX90A:TG_SPLIT: 0
	.section	.text._ZN4vllm24reshape_and_cache_kernelI14__hip_bfloat16S1_LNS_18Fp8KVCacheDataTypeE0EEEvPKT_S5_PT0_S7_PKliiiiiiPKfSB_,"axG",@progbits,_ZN4vllm24reshape_and_cache_kernelI14__hip_bfloat16S1_LNS_18Fp8KVCacheDataTypeE0EEEvPKT_S5_PT0_S7_PKliiiiiiPKfSB_,comdat
	.protected	_ZN4vllm24reshape_and_cache_kernelI14__hip_bfloat16S1_LNS_18Fp8KVCacheDataTypeE0EEEvPKT_S5_PT0_S7_PKliiiiiiPKfSB_ ; -- Begin function _ZN4vllm24reshape_and_cache_kernelI14__hip_bfloat16S1_LNS_18Fp8KVCacheDataTypeE0EEEvPKT_S5_PT0_S7_PKliiiiiiPKfSB_
	.globl	_ZN4vllm24reshape_and_cache_kernelI14__hip_bfloat16S1_LNS_18Fp8KVCacheDataTypeE0EEEvPKT_S5_PT0_S7_PKliiiiiiPKfSB_
	.p2align	8
	.type	_ZN4vllm24reshape_and_cache_kernelI14__hip_bfloat16S1_LNS_18Fp8KVCacheDataTypeE0EEEvPKT_S5_PT0_S7_PKliiiiiiPKfSB_,@function
_ZN4vllm24reshape_and_cache_kernelI14__hip_bfloat16S1_LNS_18Fp8KVCacheDataTypeE0EEEvPKT_S5_PT0_S7_PKliiiiiiPKfSB_: ; @_ZN4vllm24reshape_and_cache_kernelI14__hip_bfloat16S1_LNS_18Fp8KVCacheDataTypeE0EEEvPKT_S5_PT0_S7_PKliiiiiiPKfSB_
; %bb.0:
	s_load_dwordx2 s[0:1], s[4:5], 0x20
	s_mov_b32 s7, 0
	s_lshl_b64 s[2:3], s[6:7], 3
	s_waitcnt lgkmcnt(0)
	s_add_u32 s0, s0, s2
	s_addc_u32 s1, s1, s3
	s_load_dwordx2 s[20:21], s[0:1], 0x0
	s_waitcnt lgkmcnt(0)
	v_cmp_lt_i64_e64 s[0:1], s[20:21], 0
	s_and_b64 vcc, exec, s[0:1]
	s_cbranch_vccnz .LBB10_7
; %bb.1:
	s_load_dwordx2 s[2:3], s[4:5], 0x38
	s_load_dwordx4 s[16:19], s[4:5], 0x28
	s_waitcnt lgkmcnt(0)
	s_ashr_i32 s23, s2, 31
	s_mov_b32 s22, s2
	s_or_b64 s[0:1], s[20:21], s[22:23]
	s_mov_b32 s0, s7
	s_cmp_lg_u64 s[0:1], 0
	s_cbranch_scc0 .LBB10_8
; %bb.2:
	s_add_u32 s0, s22, s23
	s_mov_b32 s10, s23
	s_mov_b32 s11, s23
	s_addc_u32 s1, s23, s23
	s_xor_b64 s[12:13], s[0:1], s[10:11]
	v_cvt_f32_u32_e32 v1, s12
	v_cvt_f32_u32_e32 v2, s13
	s_sub_u32 s0, 0, s12
	s_subb_u32 s1, 0, s13
	v_madmk_f32 v1, v2, 0x4f800000, v1
	v_rcp_f32_e32 v1, v1
	v_mul_f32_e32 v1, 0x5f7ffffc, v1
	v_mul_f32_e32 v2, 0x2f800000, v1
	v_trunc_f32_e32 v2, v2
	v_madmk_f32 v1, v2, 0xcf800000, v1
	v_cvt_u32_f32_e32 v2, v2
	v_cvt_u32_f32_e32 v1, v1
	v_readfirstlane_b32 s7, v2
	v_readfirstlane_b32 s14, v1
	s_mul_i32 s15, s0, s7
	s_mul_hi_u32 s25, s0, s14
	s_mul_i32 s24, s1, s14
	s_add_i32 s15, s25, s15
	s_add_i32 s15, s15, s24
	s_mul_i32 s26, s0, s14
	s_mul_hi_u32 s24, s14, s15
	s_mul_i32 s25, s14, s15
	s_mul_hi_u32 s14, s14, s26
	s_add_u32 s14, s14, s25
	s_addc_u32 s24, 0, s24
	s_mul_hi_u32 s27, s7, s26
	s_mul_i32 s26, s7, s26
	s_add_u32 s14, s14, s26
	s_mul_hi_u32 s25, s7, s15
	s_addc_u32 s14, s24, s27
	s_addc_u32 s24, s25, 0
	s_mul_i32 s15, s7, s15
	s_add_u32 s14, s14, s15
	s_addc_u32 s15, 0, s24
	v_add_co_u32_e32 v1, vcc, s14, v1
	s_cmp_lg_u64 vcc, 0
	s_addc_u32 s7, s7, s15
	v_readfirstlane_b32 s15, v1
	s_mul_i32 s14, s0, s7
	s_mul_hi_u32 s24, s0, s15
	s_add_i32 s14, s24, s14
	s_mul_i32 s1, s1, s15
	s_add_i32 s14, s14, s1
	s_mul_i32 s0, s0, s15
	s_mul_hi_u32 s24, s7, s0
	s_mul_i32 s25, s7, s0
	s_mul_i32 s27, s15, s14
	s_mul_hi_u32 s0, s15, s0
	s_mul_hi_u32 s26, s15, s14
	s_add_u32 s0, s0, s27
	s_addc_u32 s15, 0, s26
	s_add_u32 s0, s0, s25
	s_mul_hi_u32 s1, s7, s14
	s_addc_u32 s0, s15, s24
	s_addc_u32 s1, s1, 0
	s_mul_i32 s14, s7, s14
	s_add_u32 s0, s0, s14
	s_addc_u32 s1, 0, s1
	v_add_co_u32_e32 v1, vcc, s0, v1
	s_cmp_lg_u64 vcc, 0
	s_addc_u32 s7, s7, s1
	s_ashr_i32 s14, s21, 31
	s_add_u32 s0, s20, s14
	s_mov_b32 s15, s14
	s_addc_u32 s1, s21, s14
	s_xor_b64 s[24:25], s[0:1], s[14:15]
	v_readfirstlane_b32 s26, v1
	s_mul_i32 s1, s24, s7
	s_mul_hi_u32 s27, s24, s26
	s_mul_hi_u32 s0, s24, s7
	s_add_u32 s1, s27, s1
	s_addc_u32 s0, 0, s0
	s_mul_hi_u32 s28, s25, s26
	s_mul_i32 s26, s25, s26
	s_add_u32 s1, s1, s26
	s_mul_hi_u32 s27, s25, s7
	s_addc_u32 s0, s0, s28
	s_addc_u32 s1, s27, 0
	s_mul_i32 s7, s25, s7
	s_add_u32 s7, s0, s7
	s_addc_u32 s26, 0, s1
	s_mul_i32 s0, s12, s26
	s_mul_hi_u32 s1, s12, s7
	s_add_i32 s0, s1, s0
	s_mul_i32 s1, s13, s7
	s_add_i32 s27, s0, s1
	s_mul_i32 s1, s12, s7
	v_mov_b32_e32 v1, s1
	s_sub_i32 s0, s25, s27
	v_sub_co_u32_e32 v1, vcc, s24, v1
	s_cmp_lg_u64 vcc, 0
	s_subb_u32 s24, s0, s13
	v_subrev_co_u32_e64 v2, s[0:1], s12, v1
	s_cmp_lg_u64 s[0:1], 0
	s_subb_u32 s0, s24, 0
	s_cmp_ge_u32 s0, s13
	v_readfirstlane_b32 s24, v2
	s_cselect_b32 s1, -1, 0
	s_cmp_ge_u32 s24, s12
	s_cselect_b32 s24, -1, 0
	s_cmp_eq_u32 s0, s13
	s_cselect_b32 s0, s24, s1
	s_add_u32 s1, s7, 1
	s_addc_u32 s24, s26, 0
	s_add_u32 s28, s7, 2
	s_addc_u32 s29, s26, 0
	s_cmp_lg_u32 s0, 0
	s_cselect_b32 s0, s28, s1
	s_cselect_b32 s1, s29, s24
	s_cmp_lg_u64 vcc, 0
	s_subb_u32 s24, s25, s27
	s_cmp_ge_u32 s24, s13
	v_readfirstlane_b32 s27, v1
	s_cselect_b32 s25, -1, 0
	s_cmp_ge_u32 s27, s12
	s_cselect_b32 s12, -1, 0
	s_cmp_eq_u32 s24, s13
	s_cselect_b32 s12, s12, s25
	s_cmp_lg_u32 s12, 0
	s_cselect_b32 s1, s1, s26
	s_cselect_b32 s0, s0, s7
	s_xor_b64 s[10:11], s[14:15], s[10:11]
	s_xor_b64 s[0:1], s[0:1], s[10:11]
	s_sub_u32 s0, s0, s10
	s_subb_u32 s1, s1, s11
	s_cbranch_execnz .LBB10_4
.LBB10_3:
	v_cvt_f32_u32_e32 v1, s22
	s_sub_i32 s0, 0, s22
	s_mov_b32 s1, 0
	v_rcp_iflag_f32_e32 v1, v1
	v_mul_f32_e32 v1, 0x4f7ffffe, v1
	v_cvt_u32_f32_e32 v1, v1
	v_readfirstlane_b32 s7, v1
	s_mul_i32 s0, s0, s7
	s_mul_hi_u32 s0, s7, s0
	s_add_i32 s7, s7, s0
	s_mul_hi_u32 s0, s20, s7
	s_mul_i32 s8, s0, s22
	s_sub_i32 s8, s20, s8
	s_add_i32 s7, s0, 1
	s_sub_i32 s9, s8, s22
	s_cmp_ge_u32 s8, s22
	s_cselect_b32 s0, s7, s0
	s_cselect_b32 s8, s9, s8
	s_add_i32 s7, s0, 1
	s_cmp_ge_u32 s8, s22
	s_cselect_b32 s0, s7, s0
.LBB10_4:
	s_mul_i32 s24, s19, s18
	v_cmp_gt_i32_e32 vcc, s24, v0
	s_and_saveexec_b64 s[8:9], vcc
	s_cbranch_execz .LBB10_7
; %bb.5:
	s_mul_i32 s7, s0, s23
	s_mul_hi_u32 s23, s0, s22
	s_add_i32 s7, s23, s7
	s_mul_i32 s1, s1, s22
	s_add_i32 s26, s7, s1
	s_mul_i32 s27, s0, s22
	s_sub_u32 s20, s20, s27
	s_subb_u32 s21, s21, s26
	s_ashr_i32 s0, s16, 31
	s_mul_hi_u32 s1, s16, s6
	s_mul_i32 s0, s0, s6
	s_add_i32 s1, s1, s0
	s_mul_i32 s0, s16, s6
	s_abs_i32 s16, s3
	v_cvt_f32_u32_e32 v1, s16
	s_sub_i32 s25, 0, s16
	s_abs_i32 s23, s19
	s_ashr_i32 s7, s17, 31
	v_rcp_iflag_f32_e32 v1, v1
	s_mul_hi_u32 s22, s17, s6
	s_mul_i32 s7, s7, s6
	s_add_i32 s7, s22, s7
	v_mul_f32_e32 v1, 0x4f7ffffe, v1
	v_cvt_u32_f32_e32 v1, v1
	s_mul_i32 s6, s17, s6
	s_ashr_i32 s17, s19, 31
	s_ashr_i32 s22, s3, 31
	v_readfirstlane_b32 s30, v1
	s_mul_i32 s25, s25, s30
	s_mul_hi_u32 s25, s30, s25
	s_add_i32 s25, s30, s25
	s_mul_hi_u32 s30, s23, s25
	s_mul_i32 s31, s30, s16
	s_sub_i32 s31, s23, s31
	s_ashr_i32 s28, s18, 31
	s_xor_b32 s29, s17, s22
	s_add_i32 s33, s30, 1
	s_sub_i32 s34, s31, s16
	s_cmp_ge_u32 s31, s16
	s_cselect_b32 s30, s33, s30
	s_cselect_b32 s31, s34, s31
	s_add_i32 s33, s30, 1
	s_cmp_ge_u32 s31, s16
	s_mul_i32 s28, s27, s28
	s_mul_hi_u32 s31, s27, s18
	s_cselect_b32 s30, s33, s30
	s_mul_i32 s26, s26, s18
	s_add_i32 s28, s31, s28
	s_mul_i32 s27, s27, s18
	s_xor_b32 s30, s30, s29
	s_add_i32 s33, s28, s26
	s_mul_i32 s26, s27, s22
	s_mul_hi_u32 s28, s27, s3
	s_sub_i32 s30, s30, s29
	s_mul_i32 s18, s33, s3
	s_add_i32 s26, s28, s26
	s_ashr_i32 s29, s30, 31
	s_add_i32 s18, s26, s18
	s_mul_i32 s26, s27, s3
	s_mul_i32 s28, s26, s29
	s_mul_hi_u32 s29, s26, s30
	s_load_dwordx8 s[8:15], s[4:5], 0x0
	s_add_i32 s28, s29, s28
	s_mul_i32 s18, s18, s30
	v_cvt_f32_u32_e32 v1, s23
	s_add_i32 s29, s28, s18
	s_mul_i32 s18, s3, s2
	s_mul_i32 s28, s26, s30
	s_mul_i32 s26, s18, s30
	s_mul_i32 s30, s20, s22
	s_mul_hi_u32 s31, s20, s3
	s_mul_i32 s34, s27, s17
	s_mul_hi_u32 s35, s27, s19
	s_add_i32 s30, s31, s30
	s_mul_i32 s31, s21, s3
	s_mul_i32 s33, s33, s19
	s_add_i32 s34, s35, s34
	s_add_i32 s31, s30, s31
	;; [unrolled: 1-line block ×3, first 2 shown]
	s_lshl_b64 s[0:1], s[0:1], 1
	v_rcp_iflag_f32_e32 v1, v1
	s_waitcnt lgkmcnt(0)
	s_add_u32 s8, s8, s0
	s_mul_i32 s34, s27, s19
	s_addc_u32 s27, s9, s1
	s_lshl_b64 s[0:1], s[6:7], 1
	s_add_u32 s9, s10, s0
	s_addc_u32 s6, s11, s1
	s_lshl_b64 s[0:1], s[28:29], 1
	v_mul_f32_e32 v1, 0x4f7ffffe, v1
	s_add_u32 s10, s12, s0
	s_load_dword s4, s[4:5], 0x5c
	v_cvt_u32_f32_e32 v1, v1
	s_addc_u32 s7, s13, s1
	s_lshl_b64 s[0:1], s[34:35], 1
	s_add_u32 s11, s14, s0
	s_addc_u32 s14, s15, s1
	s_sub_i32 s0, 0, s23
	s_mul_i32 s30, s20, s3
	v_mul_lo_u32 v2, s0, v1
	s_waitcnt lgkmcnt(0)
	s_and_b32 s12, s4, 0xffff
	v_mul_hi_u32 v2, v1, v2
	v_mov_b32_e32 v4, s6
	v_mov_b32_e32 v5, s7
	s_lshl_b64 s[4:5], s[30:31], 1
	s_lshl_b64 s[6:7], s[20:21], 1
	v_add_u32_e32 v2, v1, v2
	s_sub_i32 s13, 0, s19
	s_sub_i32 s3, 0, s3
	s_mov_b64 s[0:1], 0
	v_mov_b32_e32 v3, s27
	v_mov_b32_e32 v6, s5
	;; [unrolled: 1-line block ×4, first 2 shown]
.LBB10_6:                               ; =>This Inner Loop Header: Depth=1
	v_ashrrev_i32_e32 v1, 31, v0
	v_lshlrev_b64 v[10:11], 1, v[0:1]
	v_add_co_u32_e32 v12, vcc, s8, v10
	v_addc_co_u32_e32 v13, vcc, v3, v11, vcc
	global_load_ushort v9, v[12:13], off
	v_add_co_u32_e32 v10, vcc, s9, v10
	v_addc_co_u32_e32 v11, vcc, v4, v11, vcc
	global_load_ushort v18, v[10:11], off
	v_sub_u32_e32 v12, 0, v0
	v_max_i32_e32 v12, v0, v12
	v_mul_hi_u32 v14, v12, v2
	v_mul_lo_u32 v15, v14, s23
	v_sub_u32_e32 v10, v12, v15
	v_add_u32_e32 v16, 1, v14
	v_cmp_le_u32_e32 vcc, s23, v10
	v_subrev_u32_e32 v12, s23, v10
	v_cndmask_b32_e32 v11, v14, v16, vcc
	v_cndmask_b32_e32 v10, v10, v12, vcc
	v_add_u32_e32 v12, 1, v11
	v_cmp_le_u32_e32 vcc, s23, v10
	v_xor_b32_e32 v13, s17, v1
	v_cndmask_b32_e32 v10, v11, v12, vcc
	v_xor_b32_e32 v10, v10, v13
	v_sub_u32_e32 v12, v10, v13
	v_mad_u64_u32 v[10:11], s[14:15], s13, v12, v[0:1]
	v_mul_lo_u32 v15, v12, s19
	v_mul_lo_u32 v12, s26, v12
	v_ashrrev_i32_e32 v1, 31, v10
	v_ashrrev_i32_e32 v13, 31, v12
	v_sub_u32_e32 v19, v1, v15
	v_mul_lo_u32 v14, v15, s2
	v_lshlrev_b64 v[12:13], 1, v[12:13]
	v_add_u32_e32 v19, v0, v19
	v_xor_b32_e32 v11, s22, v1
	v_ashrrev_i32_e32 v15, 31, v14
	v_add_co_u32_e32 v20, vcc, s10, v12
	v_xor_b32_e32 v1, v19, v1
	v_addc_co_u32_e32 v21, vcc, v5, v13, vcc
	v_lshlrev_b64 v[12:13], 1, v[14:15]
	v_mul_hi_u32 v14, v1, s25
	v_mul_lo_u32 v15, v14, s16
	v_sub_u32_e32 v1, v1, v15
	v_add_u32_e32 v19, 1, v14
	v_cmp_le_u32_e32 vcc, s16, v1
	v_subrev_u32_e32 v15, s16, v1
	v_cndmask_b32_e32 v14, v14, v19, vcc
	v_cndmask_b32_e32 v1, v1, v15, vcc
	v_add_u32_e32 v15, 1, v14
	v_cmp_le_u32_e32 vcc, s16, v1
	v_cndmask_b32_e32 v1, v14, v15, vcc
	v_xor_b32_e32 v1, v1, v11
	v_sub_u32_e32 v1, v1, v11
	v_mul_lo_u32 v14, s18, v1
	v_ashrrev_i32_e32 v15, 31, v14
	v_lshlrev_b64 v[14:15], 1, v[14:15]
	v_mul_lo_u32 v16, v10, s2
	v_mad_u64_u32 v[10:11], s[14:15], s3, v1, v[10:11]
	v_add_co_u32_e32 v1, vcc, v20, v14
	v_addc_co_u32_e32 v14, vcc, v21, v15, vcc
	v_ashrrev_i32_e32 v11, 31, v10
	v_add_co_u32_e32 v1, vcc, s4, v1
	v_lshlrev_b64 v[10:11], 1, v[10:11]
	v_addc_co_u32_e32 v14, vcc, v14, v6, vcc
	v_add_co_u32_e32 v10, vcc, v1, v10
	v_addc_co_u32_e32 v11, vcc, v14, v11, vcc
	v_ashrrev_i32_e32 v17, 31, v16
	v_add_co_u32_e32 v1, vcc, s11, v12
	v_add_u32_e32 v0, s12, v0
	s_waitcnt vmcnt(1)
	global_store_short v[10:11], v9, off
	v_addc_co_u32_e32 v9, vcc, v7, v13, vcc
	v_lshlrev_b64 v[10:11], 1, v[16:17]
	v_add_co_u32_e32 v1, vcc, v1, v10
	v_addc_co_u32_e32 v9, vcc, v9, v11, vcc
	v_add_co_u32_e32 v10, vcc, s6, v1
	v_addc_co_u32_e32 v11, vcc, v9, v8, vcc
	v_cmp_le_i32_e32 vcc, s24, v0
	s_or_b64 s[0:1], vcc, s[0:1]
	s_waitcnt vmcnt(1)
	global_store_short v[10:11], v18, off
	s_andn2_b64 exec, exec, s[0:1]
	s_cbranch_execnz .LBB10_6
.LBB10_7:
	s_endpgm
.LBB10_8:
                                        ; implicit-def: $sgpr0_sgpr1
	s_branch .LBB10_3
	.section	.rodata,"a",@progbits
	.p2align	6, 0x0
	.amdhsa_kernel _ZN4vllm24reshape_and_cache_kernelI14__hip_bfloat16S1_LNS_18Fp8KVCacheDataTypeE0EEEvPKT_S5_PT0_S7_PKliiiiiiPKfSB_
		.amdhsa_group_segment_fixed_size 0
		.amdhsa_private_segment_fixed_size 0
		.amdhsa_kernarg_size 336
		.amdhsa_user_sgpr_count 6
		.amdhsa_user_sgpr_private_segment_buffer 1
		.amdhsa_user_sgpr_dispatch_ptr 0
		.amdhsa_user_sgpr_queue_ptr 0
		.amdhsa_user_sgpr_kernarg_segment_ptr 1
		.amdhsa_user_sgpr_dispatch_id 0
		.amdhsa_user_sgpr_flat_scratch_init 0
		.amdhsa_user_sgpr_kernarg_preload_length 0
		.amdhsa_user_sgpr_kernarg_preload_offset 0
		.amdhsa_user_sgpr_private_segment_size 0
		.amdhsa_uses_dynamic_stack 0
		.amdhsa_system_sgpr_private_segment_wavefront_offset 0
		.amdhsa_system_sgpr_workgroup_id_x 1
		.amdhsa_system_sgpr_workgroup_id_y 0
		.amdhsa_system_sgpr_workgroup_id_z 0
		.amdhsa_system_sgpr_workgroup_info 0
		.amdhsa_system_vgpr_workitem_id 0
		.amdhsa_next_free_vgpr 22
		.amdhsa_next_free_sgpr 36
		.amdhsa_accum_offset 24
		.amdhsa_reserve_vcc 1
		.amdhsa_reserve_flat_scratch 0
		.amdhsa_float_round_mode_32 0
		.amdhsa_float_round_mode_16_64 0
		.amdhsa_float_denorm_mode_32 3
		.amdhsa_float_denorm_mode_16_64 3
		.amdhsa_dx10_clamp 1
		.amdhsa_ieee_mode 1
		.amdhsa_fp16_overflow 0
		.amdhsa_tg_split 0
		.amdhsa_exception_fp_ieee_invalid_op 0
		.amdhsa_exception_fp_denorm_src 0
		.amdhsa_exception_fp_ieee_div_zero 0
		.amdhsa_exception_fp_ieee_overflow 0
		.amdhsa_exception_fp_ieee_underflow 0
		.amdhsa_exception_fp_ieee_inexact 0
		.amdhsa_exception_int_div_zero 0
	.end_amdhsa_kernel
	.section	.text._ZN4vllm24reshape_and_cache_kernelI14__hip_bfloat16S1_LNS_18Fp8KVCacheDataTypeE0EEEvPKT_S5_PT0_S7_PKliiiiiiPKfSB_,"axG",@progbits,_ZN4vllm24reshape_and_cache_kernelI14__hip_bfloat16S1_LNS_18Fp8KVCacheDataTypeE0EEEvPKT_S5_PT0_S7_PKliiiiiiPKfSB_,comdat
.Lfunc_end10:
	.size	_ZN4vllm24reshape_and_cache_kernelI14__hip_bfloat16S1_LNS_18Fp8KVCacheDataTypeE0EEEvPKT_S5_PT0_S7_PKliiiiiiPKfSB_, .Lfunc_end10-_ZN4vllm24reshape_and_cache_kernelI14__hip_bfloat16S1_LNS_18Fp8KVCacheDataTypeE0EEEvPKT_S5_PT0_S7_PKliiiiiiPKfSB_
                                        ; -- End function
	.section	.AMDGPU.csdata,"",@progbits
; Kernel info:
; codeLenInByte = 1664
; NumSgprs: 40
; NumVgprs: 22
; NumAgprs: 0
; TotalNumVgprs: 22
; ScratchSize: 0
; MemoryBound: 0
; FloatMode: 240
; IeeeMode: 1
; LDSByteSize: 0 bytes/workgroup (compile time only)
; SGPRBlocks: 4
; VGPRBlocks: 2
; NumSGPRsForWavesPerEU: 40
; NumVGPRsForWavesPerEU: 22
; AccumOffset: 24
; Occupancy: 8
; WaveLimiterHint : 0
; COMPUTE_PGM_RSRC2:SCRATCH_EN: 0
; COMPUTE_PGM_RSRC2:USER_SGPR: 6
; COMPUTE_PGM_RSRC2:TRAP_HANDLER: 0
; COMPUTE_PGM_RSRC2:TGID_X_EN: 1
; COMPUTE_PGM_RSRC2:TGID_Y_EN: 0
; COMPUTE_PGM_RSRC2:TGID_Z_EN: 0
; COMPUTE_PGM_RSRC2:TIDIG_COMP_CNT: 0
; COMPUTE_PGM_RSRC3_GFX90A:ACCUM_OFFSET: 5
; COMPUTE_PGM_RSRC3_GFX90A:TG_SPLIT: 0
	.section	.text._ZN4vllm24reshape_and_cache_kernelIfhLNS_18Fp8KVCacheDataTypeE1EEEvPKT_S4_PT0_S6_PKliiiiiiPKfSA_,"axG",@progbits,_ZN4vllm24reshape_and_cache_kernelIfhLNS_18Fp8KVCacheDataTypeE1EEEvPKT_S4_PT0_S6_PKliiiiiiPKfSA_,comdat
	.protected	_ZN4vllm24reshape_and_cache_kernelIfhLNS_18Fp8KVCacheDataTypeE1EEEvPKT_S4_PT0_S6_PKliiiiiiPKfSA_ ; -- Begin function _ZN4vllm24reshape_and_cache_kernelIfhLNS_18Fp8KVCacheDataTypeE1EEEvPKT_S4_PT0_S6_PKliiiiiiPKfSA_
	.globl	_ZN4vllm24reshape_and_cache_kernelIfhLNS_18Fp8KVCacheDataTypeE1EEEvPKT_S4_PT0_S6_PKliiiiiiPKfSA_
	.p2align	8
	.type	_ZN4vllm24reshape_and_cache_kernelIfhLNS_18Fp8KVCacheDataTypeE1EEEvPKT_S4_PT0_S6_PKliiiiiiPKfSA_,@function
_ZN4vllm24reshape_and_cache_kernelIfhLNS_18Fp8KVCacheDataTypeE1EEEvPKT_S4_PT0_S6_PKliiiiiiPKfSA_: ; @_ZN4vllm24reshape_and_cache_kernelIfhLNS_18Fp8KVCacheDataTypeE1EEEvPKT_S4_PT0_S6_PKliiiiiiPKfSA_
; %bb.0:
	s_load_dwordx2 s[0:1], s[4:5], 0x20
	s_mov_b32 s7, 0
	s_lshl_b64 s[2:3], s[6:7], 3
	s_waitcnt lgkmcnt(0)
	s_add_u32 s0, s0, s2
	s_addc_u32 s1, s1, s3
	s_load_dwordx2 s[20:21], s[0:1], 0x0
	s_waitcnt lgkmcnt(0)
	v_cmp_lt_i64_e64 s[0:1], s[20:21], 0
	s_and_b64 vcc, exec, s[0:1]
	s_cbranch_vccnz .LBB11_39
; %bb.1:
	s_load_dwordx2 s[2:3], s[4:5], 0x38
	s_load_dwordx4 s[16:19], s[4:5], 0x28
	s_waitcnt lgkmcnt(0)
	s_ashr_i32 s23, s2, 31
	s_mov_b32 s22, s2
	s_or_b64 s[0:1], s[20:21], s[22:23]
	s_mov_b32 s0, s7
	s_cmp_lg_u64 s[0:1], 0
	s_cbranch_scc0 .LBB11_40
; %bb.2:
	s_add_u32 s0, s22, s23
	s_mov_b32 s10, s23
	s_mov_b32 s11, s23
	s_addc_u32 s1, s23, s23
	s_xor_b64 s[12:13], s[0:1], s[10:11]
	v_cvt_f32_u32_e32 v1, s12
	v_cvt_f32_u32_e32 v2, s13
	s_sub_u32 s0, 0, s12
	s_subb_u32 s1, 0, s13
	v_madmk_f32 v1, v2, 0x4f800000, v1
	v_rcp_f32_e32 v1, v1
	v_mul_f32_e32 v1, 0x5f7ffffc, v1
	v_mul_f32_e32 v2, 0x2f800000, v1
	v_trunc_f32_e32 v2, v2
	v_madmk_f32 v1, v2, 0xcf800000, v1
	v_cvt_u32_f32_e32 v2, v2
	v_cvt_u32_f32_e32 v1, v1
	v_readfirstlane_b32 s7, v2
	v_readfirstlane_b32 s14, v1
	s_mul_i32 s15, s0, s7
	s_mul_hi_u32 s25, s0, s14
	s_mul_i32 s24, s1, s14
	s_add_i32 s15, s25, s15
	s_add_i32 s15, s15, s24
	s_mul_i32 s26, s0, s14
	s_mul_hi_u32 s24, s14, s15
	s_mul_i32 s25, s14, s15
	s_mul_hi_u32 s14, s14, s26
	s_add_u32 s14, s14, s25
	s_addc_u32 s24, 0, s24
	s_mul_hi_u32 s27, s7, s26
	s_mul_i32 s26, s7, s26
	s_add_u32 s14, s14, s26
	s_mul_hi_u32 s25, s7, s15
	s_addc_u32 s14, s24, s27
	s_addc_u32 s24, s25, 0
	s_mul_i32 s15, s7, s15
	s_add_u32 s14, s14, s15
	s_addc_u32 s15, 0, s24
	v_add_co_u32_e32 v1, vcc, s14, v1
	s_cmp_lg_u64 vcc, 0
	s_addc_u32 s7, s7, s15
	v_readfirstlane_b32 s15, v1
	s_mul_i32 s14, s0, s7
	s_mul_hi_u32 s24, s0, s15
	s_add_i32 s14, s24, s14
	s_mul_i32 s1, s1, s15
	s_add_i32 s14, s14, s1
	s_mul_i32 s0, s0, s15
	s_mul_hi_u32 s24, s7, s0
	s_mul_i32 s25, s7, s0
	s_mul_i32 s27, s15, s14
	s_mul_hi_u32 s0, s15, s0
	s_mul_hi_u32 s26, s15, s14
	s_add_u32 s0, s0, s27
	s_addc_u32 s15, 0, s26
	s_add_u32 s0, s0, s25
	s_mul_hi_u32 s1, s7, s14
	s_addc_u32 s0, s15, s24
	s_addc_u32 s1, s1, 0
	s_mul_i32 s14, s7, s14
	s_add_u32 s0, s0, s14
	s_addc_u32 s1, 0, s1
	v_add_co_u32_e32 v1, vcc, s0, v1
	s_cmp_lg_u64 vcc, 0
	s_addc_u32 s7, s7, s1
	s_ashr_i32 s14, s21, 31
	s_add_u32 s0, s20, s14
	s_mov_b32 s15, s14
	s_addc_u32 s1, s21, s14
	s_xor_b64 s[24:25], s[0:1], s[14:15]
	v_readfirstlane_b32 s26, v1
	s_mul_i32 s1, s24, s7
	s_mul_hi_u32 s27, s24, s26
	s_mul_hi_u32 s0, s24, s7
	s_add_u32 s1, s27, s1
	s_addc_u32 s0, 0, s0
	s_mul_hi_u32 s28, s25, s26
	s_mul_i32 s26, s25, s26
	s_add_u32 s1, s1, s26
	s_mul_hi_u32 s27, s25, s7
	s_addc_u32 s0, s0, s28
	s_addc_u32 s1, s27, 0
	s_mul_i32 s7, s25, s7
	s_add_u32 s7, s0, s7
	s_addc_u32 s26, 0, s1
	s_mul_i32 s0, s12, s26
	s_mul_hi_u32 s1, s12, s7
	s_add_i32 s0, s1, s0
	s_mul_i32 s1, s13, s7
	s_add_i32 s27, s0, s1
	s_mul_i32 s1, s12, s7
	v_mov_b32_e32 v1, s1
	s_sub_i32 s0, s25, s27
	v_sub_co_u32_e32 v1, vcc, s24, v1
	s_cmp_lg_u64 vcc, 0
	s_subb_u32 s24, s0, s13
	v_subrev_co_u32_e64 v2, s[0:1], s12, v1
	s_cmp_lg_u64 s[0:1], 0
	s_subb_u32 s0, s24, 0
	s_cmp_ge_u32 s0, s13
	v_readfirstlane_b32 s24, v2
	s_cselect_b32 s1, -1, 0
	s_cmp_ge_u32 s24, s12
	s_cselect_b32 s24, -1, 0
	s_cmp_eq_u32 s0, s13
	s_cselect_b32 s0, s24, s1
	s_add_u32 s1, s7, 1
	s_addc_u32 s24, s26, 0
	s_add_u32 s28, s7, 2
	s_addc_u32 s29, s26, 0
	s_cmp_lg_u32 s0, 0
	s_cselect_b32 s0, s28, s1
	s_cselect_b32 s1, s29, s24
	s_cmp_lg_u64 vcc, 0
	s_subb_u32 s24, s25, s27
	s_cmp_ge_u32 s24, s13
	v_readfirstlane_b32 s27, v1
	s_cselect_b32 s25, -1, 0
	s_cmp_ge_u32 s27, s12
	s_cselect_b32 s12, -1, 0
	s_cmp_eq_u32 s24, s13
	s_cselect_b32 s12, s12, s25
	s_cmp_lg_u32 s12, 0
	s_cselect_b32 s1, s1, s26
	s_cselect_b32 s0, s0, s7
	s_xor_b64 s[10:11], s[14:15], s[10:11]
	s_xor_b64 s[0:1], s[0:1], s[10:11]
	s_sub_u32 s0, s0, s10
	s_subb_u32 s1, s1, s11
	s_cbranch_execnz .LBB11_4
.LBB11_3:
	v_cvt_f32_u32_e32 v1, s22
	s_sub_i32 s0, 0, s22
	s_mov_b32 s1, 0
	v_rcp_iflag_f32_e32 v1, v1
	v_mul_f32_e32 v1, 0x4f7ffffe, v1
	v_cvt_u32_f32_e32 v1, v1
	v_readfirstlane_b32 s7, v1
	s_mul_i32 s0, s0, s7
	s_mul_hi_u32 s0, s7, s0
	s_add_i32 s7, s7, s0
	s_mul_hi_u32 s0, s20, s7
	s_mul_i32 s8, s0, s22
	s_sub_i32 s8, s20, s8
	s_add_i32 s7, s0, 1
	s_sub_i32 s9, s8, s22
	s_cmp_ge_u32 s8, s22
	s_cselect_b32 s0, s7, s0
	s_cselect_b32 s8, s9, s8
	s_add_i32 s7, s0, 1
	s_cmp_ge_u32 s8, s22
	s_cselect_b32 s0, s7, s0
.LBB11_4:
	s_mul_i32 s24, s19, s18
	v_cmp_gt_i32_e32 vcc, s24, v0
	s_and_saveexec_b64 s[8:9], vcc
	s_cbranch_execz .LBB11_39
; %bb.5:
	s_mul_i32 s7, s0, s23
	s_mul_hi_u32 s23, s0, s22
	s_add_i32 s7, s23, s7
	s_mul_i32 s1, s1, s22
	s_add_i32 s28, s7, s1
	s_mul_i32 s29, s0, s22
	s_sub_u32 s20, s20, s29
	s_subb_u32 s21, s21, s28
	s_abs_i32 s22, s3
	v_cvt_f32_u32_e32 v1, s22
	s_sub_i32 s27, 0, s22
	s_abs_i32 s26, s19
	s_ashr_i32 s0, s16, 31
	v_rcp_iflag_f32_e32 v1, v1
	s_mul_hi_u32 s1, s16, s6
	s_mul_i32 s0, s0, s6
	s_ashr_i32 s7, s17, 31
	v_mul_f32_e32 v1, 0x4f7ffffe, v1
	v_cvt_u32_f32_e32 v1, v1
	s_add_i32 s1, s1, s0
	s_mul_i32 s0, s16, s6
	s_mul_hi_u32 s16, s17, s6
	v_readfirstlane_b32 s30, v1
	s_mul_i32 s27, s27, s30
	s_mul_hi_u32 s27, s30, s27
	s_add_i32 s27, s30, s27
	s_mul_hi_u32 s30, s26, s27
	s_mul_i32 s31, s30, s22
	s_mul_i32 s7, s7, s6
	s_ashr_i32 s23, s19, 31
	s_ashr_i32 s25, s3, 31
	s_sub_i32 s31, s26, s31
	s_add_i32 s7, s16, s7
	s_mul_i32 s6, s17, s6
	s_ashr_i32 s16, s18, 31
	s_xor_b32 s17, s23, s25
	s_add_i32 s33, s30, 1
	s_sub_i32 s34, s31, s22
	s_cmp_ge_u32 s31, s22
	s_cselect_b32 s30, s33, s30
	s_cselect_b32 s31, s34, s31
	s_add_i32 s33, s30, 1
	s_cmp_ge_u32 s31, s22
	s_mul_i32 s16, s29, s16
	s_mul_hi_u32 s31, s29, s18
	s_cselect_b32 s30, s33, s30
	s_mul_i32 s28, s28, s18
	s_add_i32 s16, s31, s16
	s_mul_i32 s31, s29, s18
	s_xor_b32 s30, s30, s17
	s_add_i32 s16, s16, s28
	s_mul_i32 s28, s31, s25
	s_mul_hi_u32 s29, s31, s3
	s_sub_i32 s17, s30, s17
	s_mul_i32 s18, s16, s3
	s_add_i32 s28, s29, s28
	s_ashr_i32 s30, s17, 31
	s_add_i32 s18, s28, s18
	s_mul_i32 s28, s31, s3
	s_mul_i32 s29, s28, s30
	s_mul_hi_u32 s30, s28, s17
	s_add_i32 s29, s30, s29
	s_mul_i32 s18, s18, s17
	s_add_i32 s40, s29, s18
	s_mul_i32 s18, s3, s2
	s_load_dwordx8 s[8:15], s[4:5], 0x0
	s_mul_i32 s35, s28, s17
	s_mul_i32 s28, s18, s17
	;; [unrolled: 1-line block ×3, first 2 shown]
	s_mul_hi_u32 s29, s20, s3
	v_cvt_f32_u32_e32 v1, s26
	s_add_i32 s17, s29, s17
	s_mul_i32 s29, s21, s3
	s_add_i32 s29, s17, s29
	s_mul_i32 s17, s31, s23
	s_mul_hi_u32 s33, s31, s19
	s_mul_i32 s16, s16, s19
	s_add_i32 s17, s33, s17
	s_add_i32 s17, s17, s16
	s_lshl_b64 s[0:1], s[0:1], 2
	s_load_dwordx4 s[36:39], s[4:5], 0x40
	v_rcp_iflag_f32_e32 v1, v1
	s_mul_i32 s16, s31, s19
	s_waitcnt lgkmcnt(0)
	s_add_u32 s31, s8, s0
	s_addc_u32 s8, s9, s1
	s_lshl_b64 s[0:1], s[6:7], 2
	s_add_u32 s33, s10, s0
	s_addc_u32 s0, s11, s1
	s_load_dword s1, s[4:5], 0x5c
	s_load_dword s34, s[36:37], 0x0
	v_mul_f32_e32 v1, 0x4f7ffffe, v1
	s_add_u32 s35, s12, s35
	v_cvt_u32_f32_e32 v1, v1
	s_addc_u32 s36, s13, s40
	s_load_dword s37, s[38:39], 0x0
	s_add_u32 s38, s14, s16
	s_addc_u32 s39, s15, s17
	s_waitcnt lgkmcnt(0)
	s_and_b32 s40, s1, 0xffff
	s_sub_i32 s1, 0, s26
	v_mul_lo_u32 v2, s1, v1
	v_mul_hi_u32 v2, v1, v2
	s_mul_i32 s30, s20, s3
	v_add_u32_e32 v8, v1, v2
	s_sub_i32 s41, 0, s19
	s_sub_i32 s3, 0, s3
	s_mov_b64 s[4:5], 0
	v_mov_b32_e32 v9, s8
	v_mov_b32_e32 v10, s0
	;; [unrolled: 1-line block ×3, first 2 shown]
	s_movk_i32 s42, 0x80
	s_mov_b64 s[6:7], 0x7f800000
	s_mov_b64 s[8:9], 0x43e00001
	s_movk_i32 s43, 0x7a
	s_mov_b64 s[10:11], 0xffffff
	s_movk_i32 s44, 0x7f
	v_mov_b32_e32 v11, 0xffffff82
	v_mov_b32_e32 v12, 0x78
	s_branch .LBB11_7
.LBB11_6:                               ;   in Loop: Header=BB11_7 Depth=1
	s_or_b64 exec, exec, s[0:1]
	v_mul_lo_u32 v1, v1, s2
	v_ashrrev_i32_e32 v2, 31, v1
	v_mov_b32_e32 v6, s39
	v_add_co_u32_e32 v1, vcc, s38, v1
	v_mul_lo_u32 v4, v4, s2
	v_addc_co_u32_e32 v2, vcc, v6, v2, vcc
	v_ashrrev_i32_e32 v5, 31, v4
	v_add_co_u32_e32 v1, vcc, v1, v4
	v_addc_co_u32_e32 v2, vcc, v2, v5, vcc
	v_mov_b32_e32 v5, s21
	v_add_co_u32_e32 v4, vcc, s20, v1
	v_addc_co_u32_e32 v5, vcc, v2, v5, vcc
	v_add_u32_e32 v0, s40, v0
	v_cmp_le_i32_e32 vcc, s24, v0
	s_or_b64 s[4:5], vcc, s[4:5]
	global_store_byte v[4:5], v7, off
	s_andn2_b64 exec, exec, s[4:5]
	s_cbranch_execz .LBB11_39
.LBB11_7:                               ; =>This Inner Loop Header: Depth=1
	v_ashrrev_i32_e32 v1, 31, v0
	v_lshlrev_b64 v[4:5], 2, v[0:1]
	v_add_co_u32_e32 v6, vcc, s31, v4
	v_addc_co_u32_e32 v7, vcc, v9, v5, vcc
	global_load_dword v2, v[6:7], off
	v_add_co_u32_e32 v4, vcc, s33, v4
	v_addc_co_u32_e32 v5, vcc, v10, v5, vcc
	global_load_dword v6, v[4:5], off
	v_mov_b32_e32 v15, v3
	s_waitcnt vmcnt(1)
	v_div_scale_f32 v4, s[0:1], s34, s34, v2
	v_rcp_f32_e32 v5, v4
	v_div_scale_f32 v7, vcc, v2, s34, v2
	v_fma_f32 v13, -v4, v5, 1.0
	v_fmac_f32_e32 v5, v13, v5
	v_mul_f32_e32 v13, v7, v5
	v_fma_f32 v14, -v4, v13, v7
	v_fmac_f32_e32 v13, v14, v5
	v_fma_f32 v4, -v4, v13, v7
	v_div_fmas_f32 v4, v4, v5, v13
	v_div_fixup_f32 v4, v4, s34, v2
	v_and_b32_sdwa v13, v4, s42 dst_sel:DWORD dst_unused:UNUSED_PAD src0_sel:BYTE_3 src1_sel:DWORD
	v_and_b32_e32 v14, 0x7f800000, v4
	v_and_b32_e32 v2, 0x7fffff, v4
	v_or_b32_e32 v7, 0x7e, v13
	v_cmp_ne_u64_e32 vcc, s[6:7], v[14:15]
	s_and_saveexec_b64 s[0:1], vcc
	s_xor_b64 s[12:13], exec, s[0:1]
	s_cbranch_execz .LBB11_21
; %bb.8:                                ;   in Loop: Header=BB11_7 Depth=1
	v_and_b32_e32 v14, 0x7fffffff, v4
	v_mov_b32_e32 v15, v3
	v_cmp_gt_u64_e32 vcc, s[8:9], v[14:15]
	s_and_saveexec_b64 s[0:1], vcc
	s_xor_b64 s[14:15], exec, s[0:1]
	s_cbranch_execz .LBB11_20
; %bb.9:                                ;   in Loop: Header=BB11_7 Depth=1
	v_cmp_ne_u32_e32 vcc, 0, v4
	v_mov_b32_e32 v7, 0
	s_and_saveexec_b64 s[16:17], vcc
	s_cbranch_execz .LBB11_19
; %bb.10:                               ;   in Loop: Header=BB11_7 Depth=1
	v_bfe_u32 v4, v4, 23, 8
	v_sub_u32_e32 v7, 0x79, v4
	v_cmp_gt_u32_e32 vcc, s43, v4
	v_cndmask_b32_e32 v7, 0, v7, vcc
	v_cmp_eq_u32_e32 vcc, 0, v4
	v_cndmask_b32_e32 v7, v7, v12, vcc
	v_add_u32_e32 v5, 0xffffff81, v4
	v_or_b32_e32 v14, 0x800000, v2
	v_add_u32_e32 v4, 20, v7
	v_cndmask_b32_e32 v15, v5, v11, vcc
	v_cndmask_b32_e32 v2, v14, v2, vcc
	v_lshlrev_b64 v[4:5], v4, -1
	v_not_b32_e32 v4, v4
	v_lshrrev_b64 v[18:19], v7, v[2:3]
	v_not_b32_e32 v5, v5
	v_and_b32_e32 v4, v2, v4
	v_add_u32_e32 v14, 19, v7
	v_lshrrev_b32_e32 v2, 23, v18
	v_and_b32_e32 v5, 0, v5
	v_lshlrev_b64 v[16:17], v14, 1
	v_add3_u32 v14, v7, v15, v2
	v_bfe_u32 v2, v18, 20, 1
	v_add_u32_e32 v2, -1, v2
	v_cmp_eq_u64_e32 vcc, v[4:5], v[16:17]
	v_cndmask_b32_e32 v2, 0, v2, vcc
	v_add_u32_e32 v2, v2, v18
	v_and_b32_e32 v2, 0xfffff, v2
	v_add_co_u32_e32 v4, vcc, v2, v18
	v_add_u32_e32 v7, 6, v14
	v_addc_co_u32_e32 v5, vcc, 0, v19, vcc
	v_cmp_ne_u32_e32 vcc, 0, v7
                                        ; implicit-def: $vgpr2
	s_and_saveexec_b64 s[0:1], vcc
	s_xor_b64 s[0:1], exec, s[0:1]
; %bb.11:                               ;   in Loop: Header=BB11_7 Depth=1
	v_add_u32_e32 v2, 7, v14
	v_cmp_lt_u64_e32 vcc, s[10:11], v[4:5]
	v_cndmask_b32_e32 v2, v7, v2, vcc
	v_cndmask_b32_e64 v7, 0, 1, vcc
	v_lshrrev_b64 v[4:5], v7, v[4:5]
; %bb.12:                               ;   in Loop: Header=BB11_7 Depth=1
	s_andn2_saveexec_b64 s[0:1], s[0:1]
; %bb.13:                               ;   in Loop: Header=BB11_7 Depth=1
	v_bfe_u32 v2, v4, 23, 1
; %bb.14:                               ;   in Loop: Header=BB11_7 Depth=1
	s_or_b64 exec, exec, s[0:1]
	v_lshrrev_b64 v[4:5], 20, v[4:5]
	v_cmp_gt_i32_e32 vcc, 16, v2
	v_cndmask_b32_e32 v5, 0, v5, vcc
	v_cndmask_b32_e32 v4, 7, v4, vcc
	v_cmp_ne_u32_e32 vcc, 0, v2
	v_cmp_ne_u64_e64 s[0:1], 0, v[4:5]
	s_or_b64 s[0:1], vcc, s[0:1]
                                        ; implicit-def: $vgpr7
	s_and_saveexec_b64 s[46:47], s[0:1]
	s_xor_b64 s[0:1], exec, s[46:47]
; %bb.15:                               ;   in Loop: Header=BB11_7 Depth=1
	v_min_i32_e32 v2, 15, v2
	v_lshl_or_b32 v2, v2, 3, v13
	v_and_or_b32 v7, v4, 7, v2
                                        ; implicit-def: $vgpr13
; %bb.16:                               ;   in Loop: Header=BB11_7 Depth=1
	s_andn2_saveexec_b64 s[0:1], s[0:1]
; %bb.17:                               ;   in Loop: Header=BB11_7 Depth=1
	v_mov_b32_e32 v7, v13
; %bb.18:                               ;   in Loop: Header=BB11_7 Depth=1
	s_or_b64 exec, exec, s[0:1]
.LBB11_19:                              ;   in Loop: Header=BB11_7 Depth=1
	s_or_b64 exec, exec, s[16:17]
.LBB11_20:                              ;   in Loop: Header=BB11_7 Depth=1
	s_andn2_saveexec_b64 s[0:1], s[14:15]
	s_or_b64 exec, exec, s[0:1]
                                        ; implicit-def: $vgpr4
.LBB11_21:                              ;   in Loop: Header=BB11_7 Depth=1
	s_andn2_saveexec_b64 s[0:1], s[12:13]
; %bb.22:                               ;   in Loop: Header=BB11_7 Depth=1
	v_or_b32_sdwa v4, v4, s44 dst_sel:DWORD dst_unused:UNUSED_PAD src0_sel:BYTE_3 src1_sel:DWORD
	v_cmp_eq_u64_e32 vcc, 0, v[2:3]
	v_cndmask_b32_e32 v7, v4, v7, vcc
; %bb.23:                               ;   in Loop: Header=BB11_7 Depth=1
	s_or_b64 exec, exec, s[0:1]
	v_sub_u32_e32 v2, 0, v0
	v_max_i32_e32 v2, v0, v2
	v_mul_hi_u32 v4, v2, v8
	v_mul_lo_u32 v5, v4, s26
	v_sub_u32_e32 v2, v2, v5
	v_add_u32_e32 v5, 1, v4
	v_cmp_le_u32_e32 vcc, s26, v2
	v_cndmask_b32_e32 v4, v4, v5, vcc
	v_subrev_u32_e32 v5, s26, v2
	v_cndmask_b32_e32 v2, v2, v5, vcc
	v_add_u32_e32 v5, 1, v4
	v_cmp_le_u32_e32 vcc, s26, v2
	v_xor_b32_e32 v1, s23, v1
	v_cndmask_b32_e32 v2, v4, v5, vcc
	v_xor_b32_e32 v2, v2, v1
	v_sub_u32_e32 v2, v2, v1
	v_mul_lo_u32 v1, v2, s19
	v_mad_u64_u32 v[4:5], s[0:1], s41, v2, v[0:1]
	v_ashrrev_i32_e32 v5, 31, v4
	v_sub_u32_e32 v14, v5, v1
	v_add_u32_e32 v14, v0, v14
	v_xor_b32_e32 v13, s25, v5
	v_xor_b32_e32 v5, v14, v5
	v_mul_hi_u32 v14, v5, s27
	v_mul_lo_u32 v15, v14, s22
	v_sub_u32_e32 v5, v5, v15
	v_add_u32_e32 v15, 1, v14
	v_cmp_le_u32_e32 vcc, s22, v5
	v_cndmask_b32_e32 v14, v14, v15, vcc
	v_subrev_u32_e32 v15, s22, v5
	v_cndmask_b32_e32 v5, v5, v15, vcc
	v_add_u32_e32 v15, 1, v14
	v_cmp_le_u32_e32 vcc, s22, v5
	v_cndmask_b32_e32 v5, v14, v15, vcc
	v_xor_b32_e32 v5, v5, v13
	v_mul_lo_u32 v2, s28, v2
	v_sub_u32_e32 v5, v5, v13
	v_ashrrev_i32_e32 v13, 31, v2
	v_mov_b32_e32 v17, s36
	v_add_co_u32_e32 v2, vcc, s35, v2
	v_mad_u64_u32 v[14:15], s[0:1], s3, v5, v[4:5]
	v_mul_lo_u32 v5, s18, v5
	v_addc_co_u32_e32 v13, vcc, v17, v13, vcc
	v_ashrrev_i32_e32 v15, 31, v5
	v_add_co_u32_e32 v2, vcc, v2, v5
	v_addc_co_u32_e32 v5, vcc, v13, v15, vcc
	v_mov_b32_e32 v13, s29
	v_add_co_u32_e32 v2, vcc, s30, v2
	v_addc_co_u32_e32 v5, vcc, v5, v13, vcc
	s_waitcnt vmcnt(0)
	v_div_scale_f32 v13, s[0:1], s37, s37, v6
	v_rcp_f32_e32 v17, v13
	v_ashrrev_i32_e32 v16, 31, v14
	v_add_co_u32_e32 v14, vcc, v2, v14
	v_addc_co_u32_e32 v15, vcc, v5, v16, vcc
	v_fma_f32 v2, -v13, v17, 1.0
	v_fmac_f32_e32 v17, v2, v17
	v_div_scale_f32 v2, vcc, v6, s37, v6
	v_mul_f32_e32 v5, v2, v17
	global_store_byte v[14:15], v7, off
	v_fma_f32 v7, -v13, v5, v2
	v_fmac_f32_e32 v5, v7, v17
	v_fma_f32 v2, -v13, v5, v2
	v_div_fmas_f32 v2, v2, v17, v5
	v_div_fixup_f32 v6, v2, s37, v6
	v_and_b32_sdwa v5, v6, s42 dst_sel:DWORD dst_unused:UNUSED_PAD src0_sel:BYTE_3 src1_sel:DWORD
	v_and_b32_e32 v14, 0x7f800000, v6
	v_mov_b32_e32 v15, v3
	v_and_b32_e32 v2, 0x7fffff, v6
	v_or_b32_e32 v7, 0x7e, v5
	v_cmp_ne_u64_e32 vcc, s[6:7], v[14:15]
	s_and_saveexec_b64 s[0:1], vcc
	s_xor_b64 s[12:13], exec, s[0:1]
	s_cbranch_execz .LBB11_37
; %bb.24:                               ;   in Loop: Header=BB11_7 Depth=1
	v_and_b32_e32 v14, 0x7fffffff, v6
	v_mov_b32_e32 v15, v3
	v_cmp_gt_u64_e32 vcc, s[8:9], v[14:15]
	s_and_saveexec_b64 s[0:1], vcc
	s_xor_b64 s[14:15], exec, s[0:1]
	s_cbranch_execz .LBB11_36
; %bb.25:                               ;   in Loop: Header=BB11_7 Depth=1
	v_cmp_ne_u32_e32 vcc, 0, v6
	v_mov_b32_e32 v7, 0
	s_and_saveexec_b64 s[16:17], vcc
	s_cbranch_execz .LBB11_35
; %bb.26:                               ;   in Loop: Header=BB11_7 Depth=1
	v_bfe_u32 v6, v6, 23, 8
	v_sub_u32_e32 v13, 0x79, v6
	v_cmp_gt_u32_e32 vcc, s43, v6
	v_cndmask_b32_e32 v13, 0, v13, vcc
	v_cmp_eq_u32_e32 vcc, 0, v6
	v_cndmask_b32_e32 v13, v13, v12, vcc
	v_add_u32_e32 v7, 0xffffff81, v6
	v_or_b32_e32 v14, 0x800000, v2
	v_add_u32_e32 v6, 20, v13
	v_cndmask_b32_e32 v15, v7, v11, vcc
	v_cndmask_b32_e32 v2, v14, v2, vcc
	v_lshlrev_b64 v[6:7], v6, -1
	v_not_b32_e32 v6, v6
	v_lshrrev_b64 v[18:19], v13, v[2:3]
	v_not_b32_e32 v7, v7
	v_and_b32_e32 v6, v2, v6
	v_add_u32_e32 v14, 19, v13
	v_lshrrev_b32_e32 v2, 23, v18
	v_and_b32_e32 v7, 0, v7
	v_lshlrev_b64 v[16:17], v14, 1
	v_add3_u32 v14, v13, v15, v2
	v_bfe_u32 v2, v18, 20, 1
	v_add_u32_e32 v2, -1, v2
	v_cmp_eq_u64_e32 vcc, v[6:7], v[16:17]
	v_cndmask_b32_e32 v2, 0, v2, vcc
	v_add_u32_e32 v2, v2, v18
	v_and_b32_e32 v2, 0xfffff, v2
	v_add_co_u32_e32 v6, vcc, v2, v18
	v_add_u32_e32 v13, 6, v14
	v_addc_co_u32_e32 v7, vcc, 0, v19, vcc
	v_cmp_ne_u32_e32 vcc, 0, v13
                                        ; implicit-def: $vgpr2
	s_and_saveexec_b64 s[0:1], vcc
	s_xor_b64 s[0:1], exec, s[0:1]
; %bb.27:                               ;   in Loop: Header=BB11_7 Depth=1
	v_add_u32_e32 v2, 7, v14
	v_cmp_lt_u64_e32 vcc, s[10:11], v[6:7]
	v_cndmask_b32_e32 v2, v13, v2, vcc
	v_cndmask_b32_e64 v13, 0, 1, vcc
	v_lshrrev_b64 v[6:7], v13, v[6:7]
; %bb.28:                               ;   in Loop: Header=BB11_7 Depth=1
	s_andn2_saveexec_b64 s[0:1], s[0:1]
; %bb.29:                               ;   in Loop: Header=BB11_7 Depth=1
	v_bfe_u32 v2, v6, 23, 1
; %bb.30:                               ;   in Loop: Header=BB11_7 Depth=1
	s_or_b64 exec, exec, s[0:1]
	v_lshrrev_b64 v[6:7], 20, v[6:7]
	v_cmp_gt_i32_e32 vcc, 16, v2
	v_cndmask_b32_e32 v7, 0, v7, vcc
	v_cndmask_b32_e32 v6, 7, v6, vcc
	v_cmp_ne_u32_e32 vcc, 0, v2
	v_cmp_ne_u64_e64 s[0:1], 0, v[6:7]
	s_or_b64 s[0:1], vcc, s[0:1]
                                        ; implicit-def: $vgpr7
	s_and_saveexec_b64 s[46:47], s[0:1]
	s_xor_b64 s[0:1], exec, s[46:47]
; %bb.31:                               ;   in Loop: Header=BB11_7 Depth=1
	v_min_i32_e32 v2, 15, v2
	v_lshl_or_b32 v2, v2, 3, v5
	v_and_or_b32 v7, v6, 7, v2
                                        ; implicit-def: $vgpr5
; %bb.32:                               ;   in Loop: Header=BB11_7 Depth=1
	s_andn2_saveexec_b64 s[0:1], s[0:1]
; %bb.33:                               ;   in Loop: Header=BB11_7 Depth=1
	v_mov_b32_e32 v7, v5
; %bb.34:                               ;   in Loop: Header=BB11_7 Depth=1
	s_or_b64 exec, exec, s[0:1]
.LBB11_35:                              ;   in Loop: Header=BB11_7 Depth=1
	s_or_b64 exec, exec, s[16:17]
.LBB11_36:                              ;   in Loop: Header=BB11_7 Depth=1
	s_andn2_saveexec_b64 s[0:1], s[14:15]
	s_or_b64 exec, exec, s[0:1]
                                        ; implicit-def: $vgpr6
.LBB11_37:                              ;   in Loop: Header=BB11_7 Depth=1
	s_andn2_saveexec_b64 s[0:1], s[12:13]
	s_cbranch_execz .LBB11_6
; %bb.38:                               ;   in Loop: Header=BB11_7 Depth=1
	v_or_b32_sdwa v5, v6, s44 dst_sel:DWORD dst_unused:UNUSED_PAD src0_sel:BYTE_3 src1_sel:DWORD
	v_cmp_eq_u64_e32 vcc, 0, v[2:3]
	v_cndmask_b32_e32 v7, v5, v7, vcc
	s_branch .LBB11_6
.LBB11_39:
	s_endpgm
.LBB11_40:
                                        ; implicit-def: $sgpr0_sgpr1
	s_branch .LBB11_3
	.section	.rodata,"a",@progbits
	.p2align	6, 0x0
	.amdhsa_kernel _ZN4vllm24reshape_and_cache_kernelIfhLNS_18Fp8KVCacheDataTypeE1EEEvPKT_S4_PT0_S6_PKliiiiiiPKfSA_
		.amdhsa_group_segment_fixed_size 0
		.amdhsa_private_segment_fixed_size 0
		.amdhsa_kernarg_size 336
		.amdhsa_user_sgpr_count 6
		.amdhsa_user_sgpr_private_segment_buffer 1
		.amdhsa_user_sgpr_dispatch_ptr 0
		.amdhsa_user_sgpr_queue_ptr 0
		.amdhsa_user_sgpr_kernarg_segment_ptr 1
		.amdhsa_user_sgpr_dispatch_id 0
		.amdhsa_user_sgpr_flat_scratch_init 0
		.amdhsa_user_sgpr_kernarg_preload_length 0
		.amdhsa_user_sgpr_kernarg_preload_offset 0
		.amdhsa_user_sgpr_private_segment_size 0
		.amdhsa_uses_dynamic_stack 0
		.amdhsa_system_sgpr_private_segment_wavefront_offset 0
		.amdhsa_system_sgpr_workgroup_id_x 1
		.amdhsa_system_sgpr_workgroup_id_y 0
		.amdhsa_system_sgpr_workgroup_id_z 0
		.amdhsa_system_sgpr_workgroup_info 0
		.amdhsa_system_vgpr_workitem_id 0
		.amdhsa_next_free_vgpr 20
		.amdhsa_next_free_sgpr 48
		.amdhsa_accum_offset 20
		.amdhsa_reserve_vcc 1
		.amdhsa_reserve_flat_scratch 0
		.amdhsa_float_round_mode_32 0
		.amdhsa_float_round_mode_16_64 0
		.amdhsa_float_denorm_mode_32 3
		.amdhsa_float_denorm_mode_16_64 3
		.amdhsa_dx10_clamp 1
		.amdhsa_ieee_mode 1
		.amdhsa_fp16_overflow 0
		.amdhsa_tg_split 0
		.amdhsa_exception_fp_ieee_invalid_op 0
		.amdhsa_exception_fp_denorm_src 0
		.amdhsa_exception_fp_ieee_div_zero 0
		.amdhsa_exception_fp_ieee_overflow 0
		.amdhsa_exception_fp_ieee_underflow 0
		.amdhsa_exception_fp_ieee_inexact 0
		.amdhsa_exception_int_div_zero 0
	.end_amdhsa_kernel
	.section	.text._ZN4vllm24reshape_and_cache_kernelIfhLNS_18Fp8KVCacheDataTypeE1EEEvPKT_S4_PT0_S6_PKliiiiiiPKfSA_,"axG",@progbits,_ZN4vllm24reshape_and_cache_kernelIfhLNS_18Fp8KVCacheDataTypeE1EEEvPKT_S4_PT0_S6_PKliiiiiiPKfSA_,comdat
.Lfunc_end11:
	.size	_ZN4vllm24reshape_and_cache_kernelIfhLNS_18Fp8KVCacheDataTypeE1EEEvPKT_S4_PT0_S6_PKliiiiiiPKfSA_, .Lfunc_end11-_ZN4vllm24reshape_and_cache_kernelIfhLNS_18Fp8KVCacheDataTypeE1EEEvPKT_S4_PT0_S6_PKliiiiiiPKfSA_
                                        ; -- End function
	.section	.AMDGPU.csdata,"",@progbits
; Kernel info:
; codeLenInByte = 2692
; NumSgprs: 52
; NumVgprs: 20
; NumAgprs: 0
; TotalNumVgprs: 20
; ScratchSize: 0
; MemoryBound: 0
; FloatMode: 240
; IeeeMode: 1
; LDSByteSize: 0 bytes/workgroup (compile time only)
; SGPRBlocks: 6
; VGPRBlocks: 2
; NumSGPRsForWavesPerEU: 52
; NumVGPRsForWavesPerEU: 20
; AccumOffset: 20
; Occupancy: 8
; WaveLimiterHint : 0
; COMPUTE_PGM_RSRC2:SCRATCH_EN: 0
; COMPUTE_PGM_RSRC2:USER_SGPR: 6
; COMPUTE_PGM_RSRC2:TRAP_HANDLER: 0
; COMPUTE_PGM_RSRC2:TGID_X_EN: 1
; COMPUTE_PGM_RSRC2:TGID_Y_EN: 0
; COMPUTE_PGM_RSRC2:TGID_Z_EN: 0
; COMPUTE_PGM_RSRC2:TIDIG_COMP_CNT: 0
; COMPUTE_PGM_RSRC3_GFX90A:ACCUM_OFFSET: 4
; COMPUTE_PGM_RSRC3_GFX90A:TG_SPLIT: 0
	.section	.text._ZN4vllm24reshape_and_cache_kernelIthLNS_18Fp8KVCacheDataTypeE1EEEvPKT_S4_PT0_S6_PKliiiiiiPKfSA_,"axG",@progbits,_ZN4vllm24reshape_and_cache_kernelIthLNS_18Fp8KVCacheDataTypeE1EEEvPKT_S4_PT0_S6_PKliiiiiiPKfSA_,comdat
	.protected	_ZN4vllm24reshape_and_cache_kernelIthLNS_18Fp8KVCacheDataTypeE1EEEvPKT_S4_PT0_S6_PKliiiiiiPKfSA_ ; -- Begin function _ZN4vllm24reshape_and_cache_kernelIthLNS_18Fp8KVCacheDataTypeE1EEEvPKT_S4_PT0_S6_PKliiiiiiPKfSA_
	.globl	_ZN4vllm24reshape_and_cache_kernelIthLNS_18Fp8KVCacheDataTypeE1EEEvPKT_S4_PT0_S6_PKliiiiiiPKfSA_
	.p2align	8
	.type	_ZN4vllm24reshape_and_cache_kernelIthLNS_18Fp8KVCacheDataTypeE1EEEvPKT_S4_PT0_S6_PKliiiiiiPKfSA_,@function
_ZN4vllm24reshape_and_cache_kernelIthLNS_18Fp8KVCacheDataTypeE1EEEvPKT_S4_PT0_S6_PKliiiiiiPKfSA_: ; @_ZN4vllm24reshape_and_cache_kernelIthLNS_18Fp8KVCacheDataTypeE1EEEvPKT_S4_PT0_S6_PKliiiiiiPKfSA_
; %bb.0:
	s_load_dwordx2 s[0:1], s[4:5], 0x20
	s_mov_b32 s7, 0
	s_lshl_b64 s[2:3], s[6:7], 3
	s_waitcnt lgkmcnt(0)
	s_add_u32 s0, s0, s2
	s_addc_u32 s1, s1, s3
	s_load_dwordx2 s[20:21], s[0:1], 0x0
	s_waitcnt lgkmcnt(0)
	v_cmp_lt_i64_e64 s[0:1], s[20:21], 0
	s_and_b64 vcc, exec, s[0:1]
	s_cbranch_vccnz .LBB12_39
; %bb.1:
	s_load_dwordx2 s[2:3], s[4:5], 0x38
	s_load_dwordx4 s[16:19], s[4:5], 0x28
	s_waitcnt lgkmcnt(0)
	s_ashr_i32 s23, s2, 31
	s_mov_b32 s22, s2
	s_or_b64 s[0:1], s[20:21], s[22:23]
	s_mov_b32 s0, s7
	s_cmp_lg_u64 s[0:1], 0
	s_cbranch_scc0 .LBB12_40
; %bb.2:
	s_add_u32 s0, s22, s23
	s_mov_b32 s10, s23
	s_mov_b32 s11, s23
	s_addc_u32 s1, s23, s23
	s_xor_b64 s[12:13], s[0:1], s[10:11]
	v_cvt_f32_u32_e32 v1, s12
	v_cvt_f32_u32_e32 v2, s13
	s_sub_u32 s0, 0, s12
	s_subb_u32 s1, 0, s13
	v_madmk_f32 v1, v2, 0x4f800000, v1
	v_rcp_f32_e32 v1, v1
	v_mul_f32_e32 v1, 0x5f7ffffc, v1
	v_mul_f32_e32 v2, 0x2f800000, v1
	v_trunc_f32_e32 v2, v2
	v_madmk_f32 v1, v2, 0xcf800000, v1
	v_cvt_u32_f32_e32 v2, v2
	v_cvt_u32_f32_e32 v1, v1
	v_readfirstlane_b32 s7, v2
	v_readfirstlane_b32 s14, v1
	s_mul_i32 s15, s0, s7
	s_mul_hi_u32 s25, s0, s14
	s_mul_i32 s24, s1, s14
	s_add_i32 s15, s25, s15
	s_add_i32 s15, s15, s24
	s_mul_i32 s26, s0, s14
	s_mul_hi_u32 s24, s14, s15
	s_mul_i32 s25, s14, s15
	s_mul_hi_u32 s14, s14, s26
	s_add_u32 s14, s14, s25
	s_addc_u32 s24, 0, s24
	s_mul_hi_u32 s27, s7, s26
	s_mul_i32 s26, s7, s26
	s_add_u32 s14, s14, s26
	s_mul_hi_u32 s25, s7, s15
	s_addc_u32 s14, s24, s27
	s_addc_u32 s24, s25, 0
	s_mul_i32 s15, s7, s15
	s_add_u32 s14, s14, s15
	s_addc_u32 s15, 0, s24
	v_add_co_u32_e32 v1, vcc, s14, v1
	s_cmp_lg_u64 vcc, 0
	s_addc_u32 s7, s7, s15
	v_readfirstlane_b32 s15, v1
	s_mul_i32 s14, s0, s7
	s_mul_hi_u32 s24, s0, s15
	s_add_i32 s14, s24, s14
	s_mul_i32 s1, s1, s15
	s_add_i32 s14, s14, s1
	s_mul_i32 s0, s0, s15
	s_mul_hi_u32 s24, s7, s0
	s_mul_i32 s25, s7, s0
	s_mul_i32 s27, s15, s14
	s_mul_hi_u32 s0, s15, s0
	s_mul_hi_u32 s26, s15, s14
	s_add_u32 s0, s0, s27
	s_addc_u32 s15, 0, s26
	s_add_u32 s0, s0, s25
	s_mul_hi_u32 s1, s7, s14
	s_addc_u32 s0, s15, s24
	s_addc_u32 s1, s1, 0
	s_mul_i32 s14, s7, s14
	s_add_u32 s0, s0, s14
	s_addc_u32 s1, 0, s1
	v_add_co_u32_e32 v1, vcc, s0, v1
	s_cmp_lg_u64 vcc, 0
	s_addc_u32 s7, s7, s1
	s_ashr_i32 s14, s21, 31
	s_add_u32 s0, s20, s14
	s_mov_b32 s15, s14
	s_addc_u32 s1, s21, s14
	s_xor_b64 s[24:25], s[0:1], s[14:15]
	v_readfirstlane_b32 s26, v1
	s_mul_i32 s1, s24, s7
	s_mul_hi_u32 s27, s24, s26
	s_mul_hi_u32 s0, s24, s7
	s_add_u32 s1, s27, s1
	s_addc_u32 s0, 0, s0
	s_mul_hi_u32 s28, s25, s26
	s_mul_i32 s26, s25, s26
	s_add_u32 s1, s1, s26
	s_mul_hi_u32 s27, s25, s7
	s_addc_u32 s0, s0, s28
	s_addc_u32 s1, s27, 0
	s_mul_i32 s7, s25, s7
	s_add_u32 s7, s0, s7
	s_addc_u32 s26, 0, s1
	s_mul_i32 s0, s12, s26
	s_mul_hi_u32 s1, s12, s7
	s_add_i32 s0, s1, s0
	s_mul_i32 s1, s13, s7
	s_add_i32 s27, s0, s1
	s_mul_i32 s1, s12, s7
	v_mov_b32_e32 v1, s1
	s_sub_i32 s0, s25, s27
	v_sub_co_u32_e32 v1, vcc, s24, v1
	s_cmp_lg_u64 vcc, 0
	s_subb_u32 s24, s0, s13
	v_subrev_co_u32_e64 v2, s[0:1], s12, v1
	s_cmp_lg_u64 s[0:1], 0
	s_subb_u32 s0, s24, 0
	s_cmp_ge_u32 s0, s13
	v_readfirstlane_b32 s24, v2
	s_cselect_b32 s1, -1, 0
	s_cmp_ge_u32 s24, s12
	s_cselect_b32 s24, -1, 0
	s_cmp_eq_u32 s0, s13
	s_cselect_b32 s0, s24, s1
	s_add_u32 s1, s7, 1
	s_addc_u32 s24, s26, 0
	s_add_u32 s28, s7, 2
	s_addc_u32 s29, s26, 0
	s_cmp_lg_u32 s0, 0
	s_cselect_b32 s0, s28, s1
	s_cselect_b32 s1, s29, s24
	s_cmp_lg_u64 vcc, 0
	s_subb_u32 s24, s25, s27
	s_cmp_ge_u32 s24, s13
	v_readfirstlane_b32 s27, v1
	s_cselect_b32 s25, -1, 0
	s_cmp_ge_u32 s27, s12
	s_cselect_b32 s12, -1, 0
	s_cmp_eq_u32 s24, s13
	s_cselect_b32 s12, s12, s25
	s_cmp_lg_u32 s12, 0
	s_cselect_b32 s1, s1, s26
	s_cselect_b32 s0, s0, s7
	s_xor_b64 s[10:11], s[14:15], s[10:11]
	s_xor_b64 s[0:1], s[0:1], s[10:11]
	s_sub_u32 s0, s0, s10
	s_subb_u32 s1, s1, s11
	s_cbranch_execnz .LBB12_4
.LBB12_3:
	v_cvt_f32_u32_e32 v1, s22
	s_sub_i32 s0, 0, s22
	s_mov_b32 s1, 0
	v_rcp_iflag_f32_e32 v1, v1
	v_mul_f32_e32 v1, 0x4f7ffffe, v1
	v_cvt_u32_f32_e32 v1, v1
	v_readfirstlane_b32 s7, v1
	s_mul_i32 s0, s0, s7
	s_mul_hi_u32 s0, s7, s0
	s_add_i32 s7, s7, s0
	s_mul_hi_u32 s0, s20, s7
	s_mul_i32 s8, s0, s22
	s_sub_i32 s8, s20, s8
	s_add_i32 s7, s0, 1
	s_sub_i32 s9, s8, s22
	s_cmp_ge_u32 s8, s22
	s_cselect_b32 s0, s7, s0
	s_cselect_b32 s8, s9, s8
	s_add_i32 s7, s0, 1
	s_cmp_ge_u32 s8, s22
	s_cselect_b32 s0, s7, s0
.LBB12_4:
	s_mul_i32 s24, s19, s18
	v_cmp_gt_i32_e32 vcc, s24, v0
	s_and_saveexec_b64 s[8:9], vcc
	s_cbranch_execz .LBB12_39
; %bb.5:
	s_mul_i32 s7, s0, s23
	s_mul_hi_u32 s23, s0, s22
	s_add_i32 s7, s23, s7
	s_mul_i32 s1, s1, s22
	s_add_i32 s28, s7, s1
	s_mul_i32 s29, s0, s22
	s_sub_u32 s20, s20, s29
	s_subb_u32 s21, s21, s28
	s_abs_i32 s22, s3
	v_cvt_f32_u32_e32 v1, s22
	s_sub_i32 s27, 0, s22
	s_abs_i32 s26, s19
	s_ashr_i32 s0, s16, 31
	v_rcp_iflag_f32_e32 v1, v1
	s_mul_hi_u32 s1, s16, s6
	s_mul_i32 s0, s0, s6
	s_ashr_i32 s7, s17, 31
	v_mul_f32_e32 v1, 0x4f7ffffe, v1
	v_cvt_u32_f32_e32 v1, v1
	s_add_i32 s1, s1, s0
	s_mul_i32 s0, s16, s6
	s_mul_hi_u32 s16, s17, s6
	v_readfirstlane_b32 s30, v1
	s_mul_i32 s27, s27, s30
	s_mul_hi_u32 s27, s30, s27
	s_add_i32 s27, s30, s27
	s_mul_hi_u32 s30, s26, s27
	s_mul_i32 s31, s30, s22
	s_mul_i32 s7, s7, s6
	s_ashr_i32 s23, s19, 31
	s_ashr_i32 s25, s3, 31
	s_sub_i32 s31, s26, s31
	s_add_i32 s7, s16, s7
	s_mul_i32 s6, s17, s6
	s_ashr_i32 s16, s18, 31
	s_xor_b32 s17, s23, s25
	s_add_i32 s33, s30, 1
	s_sub_i32 s34, s31, s22
	s_cmp_ge_u32 s31, s22
	s_cselect_b32 s30, s33, s30
	s_cselect_b32 s31, s34, s31
	s_add_i32 s33, s30, 1
	s_cmp_ge_u32 s31, s22
	s_mul_i32 s16, s29, s16
	s_mul_hi_u32 s31, s29, s18
	s_cselect_b32 s30, s33, s30
	s_mul_i32 s28, s28, s18
	s_add_i32 s16, s31, s16
	s_mul_i32 s31, s29, s18
	s_xor_b32 s30, s30, s17
	s_add_i32 s16, s16, s28
	s_mul_i32 s28, s31, s25
	s_mul_hi_u32 s29, s31, s3
	s_sub_i32 s17, s30, s17
	s_mul_i32 s18, s16, s3
	s_add_i32 s28, s29, s28
	s_ashr_i32 s30, s17, 31
	s_add_i32 s18, s28, s18
	s_mul_i32 s28, s31, s3
	s_mul_i32 s29, s28, s30
	s_mul_hi_u32 s30, s28, s17
	s_add_i32 s29, s30, s29
	s_mul_i32 s18, s18, s17
	s_add_i32 s40, s29, s18
	s_mul_i32 s18, s3, s2
	s_load_dwordx8 s[8:15], s[4:5], 0x0
	s_mul_i32 s35, s28, s17
	s_mul_i32 s28, s18, s17
	;; [unrolled: 1-line block ×3, first 2 shown]
	s_mul_hi_u32 s29, s20, s3
	v_cvt_f32_u32_e32 v1, s26
	s_add_i32 s17, s29, s17
	s_mul_i32 s29, s21, s3
	s_add_i32 s29, s17, s29
	s_mul_i32 s17, s31, s23
	s_mul_hi_u32 s33, s31, s19
	s_mul_i32 s16, s16, s19
	s_add_i32 s17, s33, s17
	s_add_i32 s17, s17, s16
	s_lshl_b64 s[0:1], s[0:1], 1
	s_load_dwordx4 s[36:39], s[4:5], 0x40
	v_rcp_iflag_f32_e32 v1, v1
	s_mul_i32 s16, s31, s19
	s_waitcnt lgkmcnt(0)
	s_add_u32 s31, s8, s0
	s_addc_u32 s8, s9, s1
	s_lshl_b64 s[0:1], s[6:7], 1
	s_add_u32 s33, s10, s0
	s_addc_u32 s0, s11, s1
	s_load_dword s1, s[4:5], 0x5c
	s_load_dword s34, s[36:37], 0x0
	v_mul_f32_e32 v1, 0x4f7ffffe, v1
	s_add_u32 s35, s12, s35
	v_cvt_u32_f32_e32 v1, v1
	s_addc_u32 s36, s13, s40
	s_load_dword s37, s[38:39], 0x0
	s_add_u32 s38, s14, s16
	s_addc_u32 s39, s15, s17
	s_waitcnt lgkmcnt(0)
	s_and_b32 s40, s1, 0xffff
	s_sub_i32 s1, 0, s26
	v_mul_lo_u32 v2, s1, v1
	v_mul_hi_u32 v2, v1, v2
	s_mul_i32 s30, s20, s3
	v_add_u32_e32 v8, v1, v2
	s_sub_i32 s41, 0, s19
	s_sub_i32 s3, 0, s3
	s_mov_b64 s[4:5], 0
	v_mov_b32_e32 v9, s8
	v_mov_b32_e32 v10, s0
	;; [unrolled: 1-line block ×3, first 2 shown]
	s_movk_i32 s42, 0x80
	s_mov_b64 s[6:7], 0x7f800000
	s_mov_b64 s[8:9], 0x43e00001
	s_movk_i32 s43, 0x7a
	s_mov_b64 s[10:11], 0xffffff
	s_movk_i32 s44, 0x7f
	v_mov_b32_e32 v11, 0xffffff82
	v_mov_b32_e32 v12, 0x78
	s_branch .LBB12_7
.LBB12_6:                               ;   in Loop: Header=BB12_7 Depth=1
	s_or_b64 exec, exec, s[0:1]
	v_mul_lo_u32 v1, v1, s2
	v_ashrrev_i32_e32 v2, 31, v1
	v_mov_b32_e32 v6, s39
	v_add_co_u32_e32 v1, vcc, s38, v1
	v_mul_lo_u32 v4, v4, s2
	v_addc_co_u32_e32 v2, vcc, v6, v2, vcc
	v_ashrrev_i32_e32 v5, 31, v4
	v_add_co_u32_e32 v1, vcc, v1, v4
	v_addc_co_u32_e32 v2, vcc, v2, v5, vcc
	v_mov_b32_e32 v5, s21
	v_add_co_u32_e32 v4, vcc, s20, v1
	v_addc_co_u32_e32 v5, vcc, v2, v5, vcc
	v_add_u32_e32 v0, s40, v0
	v_cmp_le_i32_e32 vcc, s24, v0
	s_or_b64 s[4:5], vcc, s[4:5]
	global_store_byte v[4:5], v7, off
	s_andn2_b64 exec, exec, s[4:5]
	s_cbranch_execz .LBB12_39
.LBB12_7:                               ; =>This Inner Loop Header: Depth=1
	v_ashrrev_i32_e32 v1, 31, v0
	v_lshlrev_b64 v[4:5], 1, v[0:1]
	v_add_co_u32_e32 v6, vcc, s31, v4
	v_addc_co_u32_e32 v7, vcc, v9, v5, vcc
	global_load_ushort v2, v[6:7], off
	v_add_co_u32_e32 v4, vcc, s33, v4
	v_addc_co_u32_e32 v5, vcc, v10, v5, vcc
	global_load_ushort v6, v[4:5], off
	v_mov_b32_e32 v15, v3
	s_waitcnt vmcnt(1)
	v_cvt_f32_f16_e32 v2, v2
	v_div_scale_f32 v4, s[0:1], s34, s34, v2
	v_rcp_f32_e32 v5, v4
	v_div_scale_f32 v7, vcc, v2, s34, v2
	v_fma_f32 v13, -v4, v5, 1.0
	v_fmac_f32_e32 v5, v13, v5
	v_mul_f32_e32 v13, v7, v5
	v_fma_f32 v14, -v4, v13, v7
	v_fmac_f32_e32 v13, v14, v5
	v_fma_f32 v4, -v4, v13, v7
	v_div_fmas_f32 v4, v4, v5, v13
	v_div_fixup_f32 v2, v4, s34, v2
	v_cvt_f16_f32_e32 v2, v2
	v_cvt_f32_f16_e32 v4, v2
	v_and_b32_sdwa v13, v4, s42 dst_sel:DWORD dst_unused:UNUSED_PAD src0_sel:BYTE_3 src1_sel:DWORD
	v_and_b32_e32 v14, 0x7f800000, v4
	v_and_b32_e32 v2, 0x7fffff, v4
	v_or_b32_e32 v7, 0x7e, v13
	v_cmp_ne_u64_e32 vcc, s[6:7], v[14:15]
	s_and_saveexec_b64 s[0:1], vcc
	s_xor_b64 s[12:13], exec, s[0:1]
	s_cbranch_execz .LBB12_21
; %bb.8:                                ;   in Loop: Header=BB12_7 Depth=1
	v_and_b32_e32 v14, 0x7fffffff, v4
	v_mov_b32_e32 v15, v3
	v_cmp_gt_u64_e32 vcc, s[8:9], v[14:15]
	s_and_saveexec_b64 s[0:1], vcc
	s_xor_b64 s[14:15], exec, s[0:1]
	s_cbranch_execz .LBB12_20
; %bb.9:                                ;   in Loop: Header=BB12_7 Depth=1
	v_cmp_ne_u32_e32 vcc, 0, v4
	v_mov_b32_e32 v7, 0
	s_and_saveexec_b64 s[16:17], vcc
	s_cbranch_execz .LBB12_19
; %bb.10:                               ;   in Loop: Header=BB12_7 Depth=1
	v_bfe_u32 v4, v4, 23, 8
	v_sub_u32_e32 v7, 0x79, v4
	v_cmp_gt_u32_e32 vcc, s43, v4
	v_cndmask_b32_e32 v7, 0, v7, vcc
	v_cmp_eq_u32_e32 vcc, 0, v4
	v_cndmask_b32_e32 v7, v7, v12, vcc
	v_add_u32_e32 v5, 0xffffff81, v4
	v_or_b32_e32 v14, 0x800000, v2
	v_add_u32_e32 v4, 20, v7
	v_cndmask_b32_e32 v15, v5, v11, vcc
	v_cndmask_b32_e32 v2, v14, v2, vcc
	v_lshlrev_b64 v[4:5], v4, -1
	v_not_b32_e32 v4, v4
	v_lshrrev_b64 v[18:19], v7, v[2:3]
	v_not_b32_e32 v5, v5
	v_and_b32_e32 v4, v2, v4
	v_add_u32_e32 v14, 19, v7
	v_lshrrev_b32_e32 v2, 23, v18
	v_and_b32_e32 v5, 0, v5
	v_lshlrev_b64 v[16:17], v14, 1
	v_add3_u32 v14, v7, v15, v2
	v_bfe_u32 v2, v18, 20, 1
	v_add_u32_e32 v2, -1, v2
	v_cmp_eq_u64_e32 vcc, v[4:5], v[16:17]
	v_cndmask_b32_e32 v2, 0, v2, vcc
	v_add_u32_e32 v2, v2, v18
	v_and_b32_e32 v2, 0xfffff, v2
	v_add_co_u32_e32 v4, vcc, v2, v18
	v_add_u32_e32 v7, 6, v14
	v_addc_co_u32_e32 v5, vcc, 0, v19, vcc
	v_cmp_ne_u32_e32 vcc, 0, v7
                                        ; implicit-def: $vgpr2
	s_and_saveexec_b64 s[0:1], vcc
	s_xor_b64 s[0:1], exec, s[0:1]
; %bb.11:                               ;   in Loop: Header=BB12_7 Depth=1
	v_add_u32_e32 v2, 7, v14
	v_cmp_lt_u64_e32 vcc, s[10:11], v[4:5]
	v_cndmask_b32_e32 v2, v7, v2, vcc
	v_cndmask_b32_e64 v7, 0, 1, vcc
	v_lshrrev_b64 v[4:5], v7, v[4:5]
; %bb.12:                               ;   in Loop: Header=BB12_7 Depth=1
	s_andn2_saveexec_b64 s[0:1], s[0:1]
; %bb.13:                               ;   in Loop: Header=BB12_7 Depth=1
	v_bfe_u32 v2, v4, 23, 1
; %bb.14:                               ;   in Loop: Header=BB12_7 Depth=1
	s_or_b64 exec, exec, s[0:1]
	v_lshrrev_b64 v[4:5], 20, v[4:5]
	v_cmp_gt_i32_e32 vcc, 16, v2
	v_cndmask_b32_e32 v5, 0, v5, vcc
	v_cndmask_b32_e32 v4, 7, v4, vcc
	v_cmp_ne_u32_e32 vcc, 0, v2
	v_cmp_ne_u64_e64 s[0:1], 0, v[4:5]
	s_or_b64 s[0:1], vcc, s[0:1]
                                        ; implicit-def: $vgpr7
	s_and_saveexec_b64 s[46:47], s[0:1]
	s_xor_b64 s[0:1], exec, s[46:47]
; %bb.15:                               ;   in Loop: Header=BB12_7 Depth=1
	v_min_i32_e32 v2, 15, v2
	v_lshl_or_b32 v2, v2, 3, v13
	v_and_or_b32 v7, v4, 7, v2
                                        ; implicit-def: $vgpr13
; %bb.16:                               ;   in Loop: Header=BB12_7 Depth=1
	s_andn2_saveexec_b64 s[0:1], s[0:1]
; %bb.17:                               ;   in Loop: Header=BB12_7 Depth=1
	v_mov_b32_e32 v7, v13
; %bb.18:                               ;   in Loop: Header=BB12_7 Depth=1
	s_or_b64 exec, exec, s[0:1]
.LBB12_19:                              ;   in Loop: Header=BB12_7 Depth=1
	s_or_b64 exec, exec, s[16:17]
.LBB12_20:                              ;   in Loop: Header=BB12_7 Depth=1
	s_andn2_saveexec_b64 s[0:1], s[14:15]
	s_or_b64 exec, exec, s[0:1]
                                        ; implicit-def: $vgpr4
.LBB12_21:                              ;   in Loop: Header=BB12_7 Depth=1
	s_andn2_saveexec_b64 s[0:1], s[12:13]
; %bb.22:                               ;   in Loop: Header=BB12_7 Depth=1
	v_or_b32_sdwa v4, v4, s44 dst_sel:DWORD dst_unused:UNUSED_PAD src0_sel:BYTE_3 src1_sel:DWORD
	v_cmp_eq_u64_e32 vcc, 0, v[2:3]
	v_cndmask_b32_e32 v7, v4, v7, vcc
; %bb.23:                               ;   in Loop: Header=BB12_7 Depth=1
	s_or_b64 exec, exec, s[0:1]
	v_sub_u32_e32 v2, 0, v0
	v_max_i32_e32 v2, v0, v2
	v_mul_hi_u32 v4, v2, v8
	v_mul_lo_u32 v5, v4, s26
	v_sub_u32_e32 v2, v2, v5
	v_add_u32_e32 v5, 1, v4
	v_cmp_le_u32_e32 vcc, s26, v2
	v_cndmask_b32_e32 v4, v4, v5, vcc
	v_subrev_u32_e32 v5, s26, v2
	v_cndmask_b32_e32 v2, v2, v5, vcc
	v_add_u32_e32 v5, 1, v4
	v_cmp_le_u32_e32 vcc, s26, v2
	v_xor_b32_e32 v1, s23, v1
	v_cndmask_b32_e32 v2, v4, v5, vcc
	v_xor_b32_e32 v2, v2, v1
	v_sub_u32_e32 v2, v2, v1
	v_mul_lo_u32 v1, v2, s19
	v_mad_u64_u32 v[4:5], s[0:1], s41, v2, v[0:1]
	v_ashrrev_i32_e32 v5, 31, v4
	v_sub_u32_e32 v14, v5, v1
	v_add_u32_e32 v14, v0, v14
	v_xor_b32_e32 v13, s25, v5
	v_xor_b32_e32 v5, v14, v5
	v_mul_hi_u32 v14, v5, s27
	v_mul_lo_u32 v15, v14, s22
	v_sub_u32_e32 v5, v5, v15
	v_add_u32_e32 v15, 1, v14
	v_cmp_le_u32_e32 vcc, s22, v5
	v_cndmask_b32_e32 v14, v14, v15, vcc
	v_subrev_u32_e32 v15, s22, v5
	v_cndmask_b32_e32 v5, v5, v15, vcc
	v_add_u32_e32 v15, 1, v14
	v_cmp_le_u32_e32 vcc, s22, v5
	s_waitcnt vmcnt(0)
	v_cvt_f32_f16_e32 v6, v6
	v_cndmask_b32_e32 v5, v14, v15, vcc
	v_xor_b32_e32 v5, v5, v13
	v_mul_lo_u32 v2, s28, v2
	v_sub_u32_e32 v5, v5, v13
	v_ashrrev_i32_e32 v13, 31, v2
	v_mov_b32_e32 v17, s36
	v_add_co_u32_e32 v2, vcc, s35, v2
	v_addc_co_u32_e32 v13, vcc, v17, v13, vcc
	v_div_scale_f32 v17, s[0:1], s37, s37, v6
	v_rcp_f32_e32 v18, v17
	v_mad_u64_u32 v[14:15], s[0:1], s3, v5, v[4:5]
	v_mul_lo_u32 v5, s18, v5
	v_ashrrev_i32_e32 v15, 31, v5
	v_add_co_u32_e32 v2, vcc, v2, v5
	v_addc_co_u32_e32 v5, vcc, v13, v15, vcc
	v_fma_f32 v15, -v17, v18, 1.0
	v_fmac_f32_e32 v18, v15, v18
	v_div_scale_f32 v15, vcc, v6, s37, v6
	v_mul_f32_e32 v19, v15, v18
	v_fma_f32 v20, -v17, v19, v15
	v_fmac_f32_e32 v19, v20, v18
	v_fma_f32 v15, -v17, v19, v15
	v_div_fmas_f32 v15, v15, v18, v19
	v_div_fixup_f32 v6, v15, s37, v6
	v_cvt_f16_f32_e32 v6, v6
	v_mov_b32_e32 v13, s29
	v_add_co_u32_e32 v2, vcc, s30, v2
	v_cvt_f32_f16_e32 v6, v6
	v_addc_co_u32_e32 v5, vcc, v5, v13, vcc
	v_ashrrev_i32_e32 v16, 31, v14
	v_add_co_u32_e32 v14, vcc, v2, v14
	v_addc_co_u32_e32 v15, vcc, v5, v16, vcc
	global_store_byte v[14:15], v7, off
	v_and_b32_sdwa v5, v6, s42 dst_sel:DWORD dst_unused:UNUSED_PAD src0_sel:BYTE_3 src1_sel:DWORD
	v_and_b32_e32 v14, 0x7f800000, v6
	v_mov_b32_e32 v15, v3
	v_and_b32_e32 v2, 0x7fffff, v6
	v_or_b32_e32 v7, 0x7e, v5
	v_cmp_ne_u64_e32 vcc, s[6:7], v[14:15]
	s_and_saveexec_b64 s[0:1], vcc
	s_xor_b64 s[12:13], exec, s[0:1]
	s_cbranch_execz .LBB12_37
; %bb.24:                               ;   in Loop: Header=BB12_7 Depth=1
	v_and_b32_e32 v14, 0x7fffffff, v6
	v_mov_b32_e32 v15, v3
	v_cmp_gt_u64_e32 vcc, s[8:9], v[14:15]
	s_and_saveexec_b64 s[0:1], vcc
	s_xor_b64 s[14:15], exec, s[0:1]
	s_cbranch_execz .LBB12_36
; %bb.25:                               ;   in Loop: Header=BB12_7 Depth=1
	v_cmp_ne_u32_e32 vcc, 0, v6
	v_mov_b32_e32 v7, 0
	s_and_saveexec_b64 s[16:17], vcc
	s_cbranch_execz .LBB12_35
; %bb.26:                               ;   in Loop: Header=BB12_7 Depth=1
	v_bfe_u32 v6, v6, 23, 8
	v_sub_u32_e32 v13, 0x79, v6
	v_cmp_gt_u32_e32 vcc, s43, v6
	v_cndmask_b32_e32 v13, 0, v13, vcc
	v_cmp_eq_u32_e32 vcc, 0, v6
	v_cndmask_b32_e32 v13, v13, v12, vcc
	v_add_u32_e32 v7, 0xffffff81, v6
	v_or_b32_e32 v14, 0x800000, v2
	v_add_u32_e32 v6, 20, v13
	v_cndmask_b32_e32 v15, v7, v11, vcc
	v_cndmask_b32_e32 v2, v14, v2, vcc
	v_lshlrev_b64 v[6:7], v6, -1
	v_not_b32_e32 v6, v6
	v_lshrrev_b64 v[18:19], v13, v[2:3]
	v_not_b32_e32 v7, v7
	v_and_b32_e32 v6, v2, v6
	v_add_u32_e32 v14, 19, v13
	v_lshrrev_b32_e32 v2, 23, v18
	v_and_b32_e32 v7, 0, v7
	v_lshlrev_b64 v[16:17], v14, 1
	v_add3_u32 v14, v13, v15, v2
	v_bfe_u32 v2, v18, 20, 1
	v_add_u32_e32 v2, -1, v2
	v_cmp_eq_u64_e32 vcc, v[6:7], v[16:17]
	v_cndmask_b32_e32 v2, 0, v2, vcc
	v_add_u32_e32 v2, v2, v18
	v_and_b32_e32 v2, 0xfffff, v2
	v_add_co_u32_e32 v6, vcc, v2, v18
	v_add_u32_e32 v13, 6, v14
	v_addc_co_u32_e32 v7, vcc, 0, v19, vcc
	v_cmp_ne_u32_e32 vcc, 0, v13
                                        ; implicit-def: $vgpr2
	s_and_saveexec_b64 s[0:1], vcc
	s_xor_b64 s[0:1], exec, s[0:1]
; %bb.27:                               ;   in Loop: Header=BB12_7 Depth=1
	v_add_u32_e32 v2, 7, v14
	v_cmp_lt_u64_e32 vcc, s[10:11], v[6:7]
	v_cndmask_b32_e32 v2, v13, v2, vcc
	v_cndmask_b32_e64 v13, 0, 1, vcc
	v_lshrrev_b64 v[6:7], v13, v[6:7]
; %bb.28:                               ;   in Loop: Header=BB12_7 Depth=1
	s_andn2_saveexec_b64 s[0:1], s[0:1]
; %bb.29:                               ;   in Loop: Header=BB12_7 Depth=1
	v_bfe_u32 v2, v6, 23, 1
; %bb.30:                               ;   in Loop: Header=BB12_7 Depth=1
	s_or_b64 exec, exec, s[0:1]
	v_lshrrev_b64 v[6:7], 20, v[6:7]
	v_cmp_gt_i32_e32 vcc, 16, v2
	v_cndmask_b32_e32 v7, 0, v7, vcc
	v_cndmask_b32_e32 v6, 7, v6, vcc
	v_cmp_ne_u32_e32 vcc, 0, v2
	v_cmp_ne_u64_e64 s[0:1], 0, v[6:7]
	s_or_b64 s[0:1], vcc, s[0:1]
                                        ; implicit-def: $vgpr7
	s_and_saveexec_b64 s[46:47], s[0:1]
	s_xor_b64 s[0:1], exec, s[46:47]
; %bb.31:                               ;   in Loop: Header=BB12_7 Depth=1
	v_min_i32_e32 v2, 15, v2
	v_lshl_or_b32 v2, v2, 3, v5
	v_and_or_b32 v7, v6, 7, v2
                                        ; implicit-def: $vgpr5
; %bb.32:                               ;   in Loop: Header=BB12_7 Depth=1
	s_andn2_saveexec_b64 s[0:1], s[0:1]
; %bb.33:                               ;   in Loop: Header=BB12_7 Depth=1
	v_mov_b32_e32 v7, v5
; %bb.34:                               ;   in Loop: Header=BB12_7 Depth=1
	s_or_b64 exec, exec, s[0:1]
.LBB12_35:                              ;   in Loop: Header=BB12_7 Depth=1
	s_or_b64 exec, exec, s[16:17]
.LBB12_36:                              ;   in Loop: Header=BB12_7 Depth=1
	s_andn2_saveexec_b64 s[0:1], s[14:15]
	s_or_b64 exec, exec, s[0:1]
                                        ; implicit-def: $vgpr6
.LBB12_37:                              ;   in Loop: Header=BB12_7 Depth=1
	s_andn2_saveexec_b64 s[0:1], s[12:13]
	s_cbranch_execz .LBB12_6
; %bb.38:                               ;   in Loop: Header=BB12_7 Depth=1
	v_or_b32_sdwa v5, v6, s44 dst_sel:DWORD dst_unused:UNUSED_PAD src0_sel:BYTE_3 src1_sel:DWORD
	v_cmp_eq_u64_e32 vcc, 0, v[2:3]
	v_cndmask_b32_e32 v7, v5, v7, vcc
	s_branch .LBB12_6
.LBB12_39:
	s_endpgm
.LBB12_40:
                                        ; implicit-def: $sgpr0_sgpr1
	s_branch .LBB12_3
	.section	.rodata,"a",@progbits
	.p2align	6, 0x0
	.amdhsa_kernel _ZN4vllm24reshape_and_cache_kernelIthLNS_18Fp8KVCacheDataTypeE1EEEvPKT_S4_PT0_S6_PKliiiiiiPKfSA_
		.amdhsa_group_segment_fixed_size 0
		.amdhsa_private_segment_fixed_size 0
		.amdhsa_kernarg_size 336
		.amdhsa_user_sgpr_count 6
		.amdhsa_user_sgpr_private_segment_buffer 1
		.amdhsa_user_sgpr_dispatch_ptr 0
		.amdhsa_user_sgpr_queue_ptr 0
		.amdhsa_user_sgpr_kernarg_segment_ptr 1
		.amdhsa_user_sgpr_dispatch_id 0
		.amdhsa_user_sgpr_flat_scratch_init 0
		.amdhsa_user_sgpr_kernarg_preload_length 0
		.amdhsa_user_sgpr_kernarg_preload_offset 0
		.amdhsa_user_sgpr_private_segment_size 0
		.amdhsa_uses_dynamic_stack 0
		.amdhsa_system_sgpr_private_segment_wavefront_offset 0
		.amdhsa_system_sgpr_workgroup_id_x 1
		.amdhsa_system_sgpr_workgroup_id_y 0
		.amdhsa_system_sgpr_workgroup_id_z 0
		.amdhsa_system_sgpr_workgroup_info 0
		.amdhsa_system_vgpr_workitem_id 0
		.amdhsa_next_free_vgpr 21
		.amdhsa_next_free_sgpr 48
		.amdhsa_accum_offset 24
		.amdhsa_reserve_vcc 1
		.amdhsa_reserve_flat_scratch 0
		.amdhsa_float_round_mode_32 0
		.amdhsa_float_round_mode_16_64 0
		.amdhsa_float_denorm_mode_32 3
		.amdhsa_float_denorm_mode_16_64 3
		.amdhsa_dx10_clamp 1
		.amdhsa_ieee_mode 1
		.amdhsa_fp16_overflow 0
		.amdhsa_tg_split 0
		.amdhsa_exception_fp_ieee_invalid_op 0
		.amdhsa_exception_fp_denorm_src 0
		.amdhsa_exception_fp_ieee_div_zero 0
		.amdhsa_exception_fp_ieee_overflow 0
		.amdhsa_exception_fp_ieee_underflow 0
		.amdhsa_exception_fp_ieee_inexact 0
		.amdhsa_exception_int_div_zero 0
	.end_amdhsa_kernel
	.section	.text._ZN4vllm24reshape_and_cache_kernelIthLNS_18Fp8KVCacheDataTypeE1EEEvPKT_S4_PT0_S6_PKliiiiiiPKfSA_,"axG",@progbits,_ZN4vllm24reshape_and_cache_kernelIthLNS_18Fp8KVCacheDataTypeE1EEEvPKT_S4_PT0_S6_PKliiiiiiPKfSA_,comdat
.Lfunc_end12:
	.size	_ZN4vllm24reshape_and_cache_kernelIthLNS_18Fp8KVCacheDataTypeE1EEEvPKT_S4_PT0_S6_PKliiiiiiPKfSA_, .Lfunc_end12-_ZN4vllm24reshape_and_cache_kernelIthLNS_18Fp8KVCacheDataTypeE1EEEvPKT_S4_PT0_S6_PKliiiiiiPKfSA_
                                        ; -- End function
	.section	.AMDGPU.csdata,"",@progbits
; Kernel info:
; codeLenInByte = 2716
; NumSgprs: 52
; NumVgprs: 21
; NumAgprs: 0
; TotalNumVgprs: 21
; ScratchSize: 0
; MemoryBound: 0
; FloatMode: 240
; IeeeMode: 1
; LDSByteSize: 0 bytes/workgroup (compile time only)
; SGPRBlocks: 6
; VGPRBlocks: 2
; NumSGPRsForWavesPerEU: 52
; NumVGPRsForWavesPerEU: 21
; AccumOffset: 24
; Occupancy: 8
; WaveLimiterHint : 0
; COMPUTE_PGM_RSRC2:SCRATCH_EN: 0
; COMPUTE_PGM_RSRC2:USER_SGPR: 6
; COMPUTE_PGM_RSRC2:TRAP_HANDLER: 0
; COMPUTE_PGM_RSRC2:TGID_X_EN: 1
; COMPUTE_PGM_RSRC2:TGID_Y_EN: 0
; COMPUTE_PGM_RSRC2:TGID_Z_EN: 0
; COMPUTE_PGM_RSRC2:TIDIG_COMP_CNT: 0
; COMPUTE_PGM_RSRC3_GFX90A:ACCUM_OFFSET: 5
; COMPUTE_PGM_RSRC3_GFX90A:TG_SPLIT: 0
	.section	.text._ZN4vllm24reshape_and_cache_kernelI14__hip_bfloat16hLNS_18Fp8KVCacheDataTypeE1EEEvPKT_S5_PT0_S7_PKliiiiiiPKfSB_,"axG",@progbits,_ZN4vllm24reshape_and_cache_kernelI14__hip_bfloat16hLNS_18Fp8KVCacheDataTypeE1EEEvPKT_S5_PT0_S7_PKliiiiiiPKfSB_,comdat
	.protected	_ZN4vllm24reshape_and_cache_kernelI14__hip_bfloat16hLNS_18Fp8KVCacheDataTypeE1EEEvPKT_S5_PT0_S7_PKliiiiiiPKfSB_ ; -- Begin function _ZN4vllm24reshape_and_cache_kernelI14__hip_bfloat16hLNS_18Fp8KVCacheDataTypeE1EEEvPKT_S5_PT0_S7_PKliiiiiiPKfSB_
	.globl	_ZN4vllm24reshape_and_cache_kernelI14__hip_bfloat16hLNS_18Fp8KVCacheDataTypeE1EEEvPKT_S5_PT0_S7_PKliiiiiiPKfSB_
	.p2align	8
	.type	_ZN4vllm24reshape_and_cache_kernelI14__hip_bfloat16hLNS_18Fp8KVCacheDataTypeE1EEEvPKT_S5_PT0_S7_PKliiiiiiPKfSB_,@function
_ZN4vllm24reshape_and_cache_kernelI14__hip_bfloat16hLNS_18Fp8KVCacheDataTypeE1EEEvPKT_S5_PT0_S7_PKliiiiiiPKfSB_: ; @_ZN4vllm24reshape_and_cache_kernelI14__hip_bfloat16hLNS_18Fp8KVCacheDataTypeE1EEEvPKT_S5_PT0_S7_PKliiiiiiPKfSB_
; %bb.0:
	s_load_dwordx2 s[0:1], s[4:5], 0x20
	s_mov_b32 s7, 0
	s_lshl_b64 s[2:3], s[6:7], 3
	s_waitcnt lgkmcnt(0)
	s_add_u32 s0, s0, s2
	s_addc_u32 s1, s1, s3
	s_load_dwordx2 s[20:21], s[0:1], 0x0
	s_waitcnt lgkmcnt(0)
	v_cmp_lt_i64_e64 s[0:1], s[20:21], 0
	s_and_b64 vcc, exec, s[0:1]
	s_cbranch_vccnz .LBB13_39
; %bb.1:
	s_load_dwordx2 s[2:3], s[4:5], 0x38
	s_load_dwordx4 s[16:19], s[4:5], 0x28
	s_waitcnt lgkmcnt(0)
	s_ashr_i32 s23, s2, 31
	s_mov_b32 s22, s2
	s_or_b64 s[0:1], s[20:21], s[22:23]
	s_mov_b32 s0, s7
	s_cmp_lg_u64 s[0:1], 0
	s_cbranch_scc0 .LBB13_40
; %bb.2:
	s_add_u32 s0, s22, s23
	s_mov_b32 s10, s23
	s_mov_b32 s11, s23
	s_addc_u32 s1, s23, s23
	s_xor_b64 s[12:13], s[0:1], s[10:11]
	v_cvt_f32_u32_e32 v1, s12
	v_cvt_f32_u32_e32 v2, s13
	s_sub_u32 s0, 0, s12
	s_subb_u32 s1, 0, s13
	v_madmk_f32 v1, v2, 0x4f800000, v1
	v_rcp_f32_e32 v1, v1
	v_mul_f32_e32 v1, 0x5f7ffffc, v1
	v_mul_f32_e32 v2, 0x2f800000, v1
	v_trunc_f32_e32 v2, v2
	v_madmk_f32 v1, v2, 0xcf800000, v1
	v_cvt_u32_f32_e32 v2, v2
	v_cvt_u32_f32_e32 v1, v1
	v_readfirstlane_b32 s7, v2
	v_readfirstlane_b32 s14, v1
	s_mul_i32 s15, s0, s7
	s_mul_hi_u32 s25, s0, s14
	s_mul_i32 s24, s1, s14
	s_add_i32 s15, s25, s15
	s_add_i32 s15, s15, s24
	s_mul_i32 s26, s0, s14
	s_mul_hi_u32 s24, s14, s15
	s_mul_i32 s25, s14, s15
	s_mul_hi_u32 s14, s14, s26
	s_add_u32 s14, s14, s25
	s_addc_u32 s24, 0, s24
	s_mul_hi_u32 s27, s7, s26
	s_mul_i32 s26, s7, s26
	s_add_u32 s14, s14, s26
	s_mul_hi_u32 s25, s7, s15
	s_addc_u32 s14, s24, s27
	s_addc_u32 s24, s25, 0
	s_mul_i32 s15, s7, s15
	s_add_u32 s14, s14, s15
	s_addc_u32 s15, 0, s24
	v_add_co_u32_e32 v1, vcc, s14, v1
	s_cmp_lg_u64 vcc, 0
	s_addc_u32 s7, s7, s15
	v_readfirstlane_b32 s15, v1
	s_mul_i32 s14, s0, s7
	s_mul_hi_u32 s24, s0, s15
	s_add_i32 s14, s24, s14
	s_mul_i32 s1, s1, s15
	s_add_i32 s14, s14, s1
	s_mul_i32 s0, s0, s15
	s_mul_hi_u32 s24, s7, s0
	s_mul_i32 s25, s7, s0
	s_mul_i32 s27, s15, s14
	s_mul_hi_u32 s0, s15, s0
	s_mul_hi_u32 s26, s15, s14
	s_add_u32 s0, s0, s27
	s_addc_u32 s15, 0, s26
	s_add_u32 s0, s0, s25
	s_mul_hi_u32 s1, s7, s14
	s_addc_u32 s0, s15, s24
	s_addc_u32 s1, s1, 0
	s_mul_i32 s14, s7, s14
	s_add_u32 s0, s0, s14
	s_addc_u32 s1, 0, s1
	v_add_co_u32_e32 v1, vcc, s0, v1
	s_cmp_lg_u64 vcc, 0
	s_addc_u32 s7, s7, s1
	s_ashr_i32 s14, s21, 31
	s_add_u32 s0, s20, s14
	s_mov_b32 s15, s14
	s_addc_u32 s1, s21, s14
	s_xor_b64 s[24:25], s[0:1], s[14:15]
	v_readfirstlane_b32 s26, v1
	s_mul_i32 s1, s24, s7
	s_mul_hi_u32 s27, s24, s26
	s_mul_hi_u32 s0, s24, s7
	s_add_u32 s1, s27, s1
	s_addc_u32 s0, 0, s0
	s_mul_hi_u32 s28, s25, s26
	s_mul_i32 s26, s25, s26
	s_add_u32 s1, s1, s26
	s_mul_hi_u32 s27, s25, s7
	s_addc_u32 s0, s0, s28
	s_addc_u32 s1, s27, 0
	s_mul_i32 s7, s25, s7
	s_add_u32 s7, s0, s7
	s_addc_u32 s26, 0, s1
	s_mul_i32 s0, s12, s26
	s_mul_hi_u32 s1, s12, s7
	s_add_i32 s0, s1, s0
	s_mul_i32 s1, s13, s7
	s_add_i32 s27, s0, s1
	s_mul_i32 s1, s12, s7
	v_mov_b32_e32 v1, s1
	s_sub_i32 s0, s25, s27
	v_sub_co_u32_e32 v1, vcc, s24, v1
	s_cmp_lg_u64 vcc, 0
	s_subb_u32 s24, s0, s13
	v_subrev_co_u32_e64 v2, s[0:1], s12, v1
	s_cmp_lg_u64 s[0:1], 0
	s_subb_u32 s0, s24, 0
	s_cmp_ge_u32 s0, s13
	v_readfirstlane_b32 s24, v2
	s_cselect_b32 s1, -1, 0
	s_cmp_ge_u32 s24, s12
	s_cselect_b32 s24, -1, 0
	s_cmp_eq_u32 s0, s13
	s_cselect_b32 s0, s24, s1
	s_add_u32 s1, s7, 1
	s_addc_u32 s24, s26, 0
	s_add_u32 s28, s7, 2
	s_addc_u32 s29, s26, 0
	s_cmp_lg_u32 s0, 0
	s_cselect_b32 s0, s28, s1
	s_cselect_b32 s1, s29, s24
	s_cmp_lg_u64 vcc, 0
	s_subb_u32 s24, s25, s27
	s_cmp_ge_u32 s24, s13
	v_readfirstlane_b32 s27, v1
	s_cselect_b32 s25, -1, 0
	s_cmp_ge_u32 s27, s12
	s_cselect_b32 s12, -1, 0
	s_cmp_eq_u32 s24, s13
	s_cselect_b32 s12, s12, s25
	s_cmp_lg_u32 s12, 0
	s_cselect_b32 s1, s1, s26
	s_cselect_b32 s0, s0, s7
	s_xor_b64 s[10:11], s[14:15], s[10:11]
	s_xor_b64 s[0:1], s[0:1], s[10:11]
	s_sub_u32 s0, s0, s10
	s_subb_u32 s1, s1, s11
	s_cbranch_execnz .LBB13_4
.LBB13_3:
	v_cvt_f32_u32_e32 v1, s22
	s_sub_i32 s0, 0, s22
	s_mov_b32 s1, 0
	v_rcp_iflag_f32_e32 v1, v1
	v_mul_f32_e32 v1, 0x4f7ffffe, v1
	v_cvt_u32_f32_e32 v1, v1
	v_readfirstlane_b32 s7, v1
	s_mul_i32 s0, s0, s7
	s_mul_hi_u32 s0, s7, s0
	s_add_i32 s7, s7, s0
	s_mul_hi_u32 s0, s20, s7
	s_mul_i32 s8, s0, s22
	s_sub_i32 s8, s20, s8
	s_add_i32 s7, s0, 1
	s_sub_i32 s9, s8, s22
	s_cmp_ge_u32 s8, s22
	s_cselect_b32 s0, s7, s0
	s_cselect_b32 s8, s9, s8
	s_add_i32 s7, s0, 1
	s_cmp_ge_u32 s8, s22
	s_cselect_b32 s0, s7, s0
.LBB13_4:
	s_mul_i32 s24, s19, s18
	v_cmp_gt_i32_e32 vcc, s24, v0
	s_and_saveexec_b64 s[8:9], vcc
	s_cbranch_execz .LBB13_39
; %bb.5:
	s_mul_i32 s7, s0, s23
	s_mul_hi_u32 s23, s0, s22
	s_add_i32 s7, s23, s7
	s_mul_i32 s1, s1, s22
	s_add_i32 s28, s7, s1
	s_mul_i32 s29, s0, s22
	s_sub_u32 s20, s20, s29
	s_subb_u32 s21, s21, s28
	s_abs_i32 s22, s3
	v_cvt_f32_u32_e32 v1, s22
	s_sub_i32 s27, 0, s22
	s_abs_i32 s26, s19
	s_ashr_i32 s0, s16, 31
	v_rcp_iflag_f32_e32 v1, v1
	s_mul_hi_u32 s1, s16, s6
	s_mul_i32 s0, s0, s6
	s_ashr_i32 s7, s17, 31
	v_mul_f32_e32 v1, 0x4f7ffffe, v1
	v_cvt_u32_f32_e32 v1, v1
	s_add_i32 s1, s1, s0
	s_mul_i32 s0, s16, s6
	s_mul_hi_u32 s16, s17, s6
	v_readfirstlane_b32 s30, v1
	s_mul_i32 s27, s27, s30
	s_mul_hi_u32 s27, s30, s27
	s_add_i32 s27, s30, s27
	s_mul_hi_u32 s30, s26, s27
	s_mul_i32 s31, s30, s22
	s_mul_i32 s7, s7, s6
	s_ashr_i32 s23, s19, 31
	s_ashr_i32 s25, s3, 31
	s_sub_i32 s31, s26, s31
	s_add_i32 s7, s16, s7
	s_mul_i32 s6, s17, s6
	s_ashr_i32 s16, s18, 31
	s_xor_b32 s17, s23, s25
	s_add_i32 s33, s30, 1
	s_sub_i32 s34, s31, s22
	s_cmp_ge_u32 s31, s22
	s_cselect_b32 s30, s33, s30
	s_cselect_b32 s31, s34, s31
	s_add_i32 s33, s30, 1
	s_cmp_ge_u32 s31, s22
	s_mul_i32 s16, s29, s16
	s_mul_hi_u32 s31, s29, s18
	s_cselect_b32 s30, s33, s30
	s_mul_i32 s28, s28, s18
	s_add_i32 s16, s31, s16
	s_mul_i32 s31, s29, s18
	s_xor_b32 s30, s30, s17
	s_add_i32 s16, s16, s28
	s_mul_i32 s28, s31, s25
	s_mul_hi_u32 s29, s31, s3
	s_sub_i32 s17, s30, s17
	s_mul_i32 s18, s16, s3
	s_add_i32 s28, s29, s28
	s_ashr_i32 s30, s17, 31
	s_add_i32 s18, s28, s18
	s_mul_i32 s28, s31, s3
	s_mul_i32 s29, s28, s30
	s_mul_hi_u32 s30, s28, s17
	s_add_i32 s29, s30, s29
	s_mul_i32 s18, s18, s17
	s_add_i32 s40, s29, s18
	s_mul_i32 s18, s3, s2
	s_load_dwordx8 s[8:15], s[4:5], 0x0
	s_mul_i32 s35, s28, s17
	s_mul_i32 s28, s18, s17
	s_mul_i32 s17, s20, s25
	s_mul_hi_u32 s29, s20, s3
	v_cvt_f32_u32_e32 v1, s26
	s_add_i32 s17, s29, s17
	s_mul_i32 s29, s21, s3
	s_add_i32 s29, s17, s29
	s_mul_i32 s17, s31, s23
	s_mul_hi_u32 s33, s31, s19
	s_mul_i32 s16, s16, s19
	s_add_i32 s17, s33, s17
	s_add_i32 s17, s17, s16
	s_lshl_b64 s[0:1], s[0:1], 1
	s_load_dwordx4 s[36:39], s[4:5], 0x40
	v_rcp_iflag_f32_e32 v1, v1
	s_mul_i32 s16, s31, s19
	s_waitcnt lgkmcnt(0)
	s_add_u32 s31, s8, s0
	s_addc_u32 s8, s9, s1
	s_lshl_b64 s[0:1], s[6:7], 1
	s_add_u32 s33, s10, s0
	s_addc_u32 s0, s11, s1
	s_load_dword s1, s[4:5], 0x5c
	s_load_dword s34, s[36:37], 0x0
	v_mul_f32_e32 v1, 0x4f7ffffe, v1
	s_add_u32 s35, s12, s35
	v_cvt_u32_f32_e32 v1, v1
	s_addc_u32 s36, s13, s40
	s_load_dword s37, s[38:39], 0x0
	s_add_u32 s38, s14, s16
	s_addc_u32 s39, s15, s17
	s_waitcnt lgkmcnt(0)
	s_and_b32 s40, s1, 0xffff
	s_sub_i32 s1, 0, s26
	v_mul_lo_u32 v2, s1, v1
	v_mul_hi_u32 v2, v1, v2
	s_mul_i32 s30, s20, s3
	v_add_u32_e32 v8, v1, v2
	s_sub_i32 s41, 0, s19
	s_sub_i32 s3, 0, s3
	s_mov_b64 s[4:5], 0
	v_mov_b32_e32 v9, s8
	v_mov_b32_e32 v10, s0
	;; [unrolled: 1-line block ×3, first 2 shown]
	s_movk_i32 s42, 0x80
	s_mov_b64 s[6:7], 0x7f800000
	s_mov_b64 s[8:9], 0x43e00001
	s_movk_i32 s43, 0x7a
	s_mov_b64 s[10:11], 0xffffff
	s_movk_i32 s44, 0x7f
	v_mov_b32_e32 v11, 0xffffff82
	v_mov_b32_e32 v12, 0x78
	s_branch .LBB13_7
.LBB13_6:                               ;   in Loop: Header=BB13_7 Depth=1
	s_or_b64 exec, exec, s[0:1]
	v_mul_lo_u32 v1, v1, s2
	v_ashrrev_i32_e32 v2, 31, v1
	v_mov_b32_e32 v6, s39
	v_add_co_u32_e32 v1, vcc, s38, v1
	v_mul_lo_u32 v4, v4, s2
	v_addc_co_u32_e32 v2, vcc, v6, v2, vcc
	v_ashrrev_i32_e32 v5, 31, v4
	v_add_co_u32_e32 v1, vcc, v1, v4
	v_addc_co_u32_e32 v2, vcc, v2, v5, vcc
	v_mov_b32_e32 v5, s21
	v_add_co_u32_e32 v4, vcc, s20, v1
	v_addc_co_u32_e32 v5, vcc, v2, v5, vcc
	v_add_u32_e32 v0, s40, v0
	v_cmp_le_i32_e32 vcc, s24, v0
	s_or_b64 s[4:5], vcc, s[4:5]
	global_store_byte v[4:5], v7, off
	s_andn2_b64 exec, exec, s[4:5]
	s_cbranch_execz .LBB13_39
.LBB13_7:                               ; =>This Inner Loop Header: Depth=1
	v_ashrrev_i32_e32 v1, 31, v0
	v_lshlrev_b64 v[4:5], 1, v[0:1]
	v_add_co_u32_e32 v6, vcc, s31, v4
	v_addc_co_u32_e32 v7, vcc, v9, v5, vcc
	global_load_ushort v2, v[6:7], off
	v_add_co_u32_e32 v4, vcc, s33, v4
	v_addc_co_u32_e32 v5, vcc, v10, v5, vcc
	global_load_ushort v6, v[4:5], off
	v_mov_b32_e32 v15, v3
	s_waitcnt vmcnt(1)
	v_lshlrev_b32_e32 v2, 16, v2
	v_div_scale_f32 v4, s[0:1], s34, s34, v2
	v_rcp_f32_e32 v5, v4
	v_div_scale_f32 v7, vcc, v2, s34, v2
	v_fma_f32 v13, -v4, v5, 1.0
	v_fmac_f32_e32 v5, v13, v5
	v_mul_f32_e32 v13, v7, v5
	v_fma_f32 v14, -v4, v13, v7
	v_fmac_f32_e32 v13, v14, v5
	v_fma_f32 v4, -v4, v13, v7
	v_div_fmas_f32 v4, v4, v5, v13
	v_div_fixup_f32 v4, v4, s34, v2
	v_and_b32_sdwa v13, v4, s42 dst_sel:DWORD dst_unused:UNUSED_PAD src0_sel:BYTE_3 src1_sel:DWORD
	v_and_b32_e32 v14, 0x7f800000, v4
	v_and_b32_e32 v2, 0x7fffff, v4
	v_or_b32_e32 v7, 0x7e, v13
	v_cmp_ne_u64_e32 vcc, s[6:7], v[14:15]
	s_and_saveexec_b64 s[0:1], vcc
	s_xor_b64 s[12:13], exec, s[0:1]
	s_cbranch_execz .LBB13_21
; %bb.8:                                ;   in Loop: Header=BB13_7 Depth=1
	v_and_b32_e32 v14, 0x7fffffff, v4
	v_mov_b32_e32 v15, v3
	v_cmp_gt_u64_e32 vcc, s[8:9], v[14:15]
	s_and_saveexec_b64 s[0:1], vcc
	s_xor_b64 s[14:15], exec, s[0:1]
	s_cbranch_execz .LBB13_20
; %bb.9:                                ;   in Loop: Header=BB13_7 Depth=1
	v_cmp_ne_u32_e32 vcc, 0, v4
	v_mov_b32_e32 v7, 0
	s_and_saveexec_b64 s[16:17], vcc
	s_cbranch_execz .LBB13_19
; %bb.10:                               ;   in Loop: Header=BB13_7 Depth=1
	v_bfe_u32 v4, v4, 23, 8
	v_sub_u32_e32 v7, 0x79, v4
	v_cmp_gt_u32_e32 vcc, s43, v4
	v_cndmask_b32_e32 v7, 0, v7, vcc
	v_cmp_eq_u32_e32 vcc, 0, v4
	v_cndmask_b32_e32 v7, v7, v12, vcc
	v_add_u32_e32 v5, 0xffffff81, v4
	v_or_b32_e32 v14, 0x800000, v2
	v_add_u32_e32 v4, 20, v7
	v_cndmask_b32_e32 v15, v5, v11, vcc
	v_cndmask_b32_e32 v2, v14, v2, vcc
	v_lshlrev_b64 v[4:5], v4, -1
	v_not_b32_e32 v4, v4
	v_lshrrev_b64 v[18:19], v7, v[2:3]
	v_not_b32_e32 v5, v5
	v_and_b32_e32 v4, v2, v4
	v_add_u32_e32 v14, 19, v7
	v_lshrrev_b32_e32 v2, 23, v18
	v_and_b32_e32 v5, 0, v5
	v_lshlrev_b64 v[16:17], v14, 1
	v_add3_u32 v14, v7, v15, v2
	v_bfe_u32 v2, v18, 20, 1
	v_add_u32_e32 v2, -1, v2
	v_cmp_eq_u64_e32 vcc, v[4:5], v[16:17]
	v_cndmask_b32_e32 v2, 0, v2, vcc
	v_add_u32_e32 v2, v2, v18
	v_and_b32_e32 v2, 0xfffff, v2
	v_add_co_u32_e32 v4, vcc, v2, v18
	v_add_u32_e32 v7, 6, v14
	v_addc_co_u32_e32 v5, vcc, 0, v19, vcc
	v_cmp_ne_u32_e32 vcc, 0, v7
                                        ; implicit-def: $vgpr2
	s_and_saveexec_b64 s[0:1], vcc
	s_xor_b64 s[0:1], exec, s[0:1]
; %bb.11:                               ;   in Loop: Header=BB13_7 Depth=1
	v_add_u32_e32 v2, 7, v14
	v_cmp_lt_u64_e32 vcc, s[10:11], v[4:5]
	v_cndmask_b32_e32 v2, v7, v2, vcc
	v_cndmask_b32_e64 v7, 0, 1, vcc
	v_lshrrev_b64 v[4:5], v7, v[4:5]
; %bb.12:                               ;   in Loop: Header=BB13_7 Depth=1
	s_andn2_saveexec_b64 s[0:1], s[0:1]
; %bb.13:                               ;   in Loop: Header=BB13_7 Depth=1
	v_bfe_u32 v2, v4, 23, 1
; %bb.14:                               ;   in Loop: Header=BB13_7 Depth=1
	s_or_b64 exec, exec, s[0:1]
	v_lshrrev_b64 v[4:5], 20, v[4:5]
	v_cmp_gt_i32_e32 vcc, 16, v2
	v_cndmask_b32_e32 v5, 0, v5, vcc
	v_cndmask_b32_e32 v4, 7, v4, vcc
	v_cmp_ne_u32_e32 vcc, 0, v2
	v_cmp_ne_u64_e64 s[0:1], 0, v[4:5]
	s_or_b64 s[0:1], vcc, s[0:1]
                                        ; implicit-def: $vgpr7
	s_and_saveexec_b64 s[46:47], s[0:1]
	s_xor_b64 s[0:1], exec, s[46:47]
; %bb.15:                               ;   in Loop: Header=BB13_7 Depth=1
	v_min_i32_e32 v2, 15, v2
	v_lshl_or_b32 v2, v2, 3, v13
	v_and_or_b32 v7, v4, 7, v2
                                        ; implicit-def: $vgpr13
; %bb.16:                               ;   in Loop: Header=BB13_7 Depth=1
	s_andn2_saveexec_b64 s[0:1], s[0:1]
; %bb.17:                               ;   in Loop: Header=BB13_7 Depth=1
	v_mov_b32_e32 v7, v13
; %bb.18:                               ;   in Loop: Header=BB13_7 Depth=1
	s_or_b64 exec, exec, s[0:1]
.LBB13_19:                              ;   in Loop: Header=BB13_7 Depth=1
	s_or_b64 exec, exec, s[16:17]
.LBB13_20:                              ;   in Loop: Header=BB13_7 Depth=1
	s_andn2_saveexec_b64 s[0:1], s[14:15]
	s_or_b64 exec, exec, s[0:1]
                                        ; implicit-def: $vgpr4
.LBB13_21:                              ;   in Loop: Header=BB13_7 Depth=1
	s_andn2_saveexec_b64 s[0:1], s[12:13]
; %bb.22:                               ;   in Loop: Header=BB13_7 Depth=1
	v_or_b32_sdwa v4, v4, s44 dst_sel:DWORD dst_unused:UNUSED_PAD src0_sel:BYTE_3 src1_sel:DWORD
	v_cmp_eq_u64_e32 vcc, 0, v[2:3]
	v_cndmask_b32_e32 v7, v4, v7, vcc
; %bb.23:                               ;   in Loop: Header=BB13_7 Depth=1
	s_or_b64 exec, exec, s[0:1]
	v_sub_u32_e32 v2, 0, v0
	v_max_i32_e32 v2, v0, v2
	v_mul_hi_u32 v4, v2, v8
	v_mul_lo_u32 v5, v4, s26
	v_sub_u32_e32 v2, v2, v5
	v_add_u32_e32 v5, 1, v4
	v_cmp_le_u32_e32 vcc, s26, v2
	v_cndmask_b32_e32 v4, v4, v5, vcc
	v_subrev_u32_e32 v5, s26, v2
	v_cndmask_b32_e32 v2, v2, v5, vcc
	v_add_u32_e32 v5, 1, v4
	v_cmp_le_u32_e32 vcc, s26, v2
	v_xor_b32_e32 v1, s23, v1
	v_cndmask_b32_e32 v2, v4, v5, vcc
	v_xor_b32_e32 v2, v2, v1
	v_sub_u32_e32 v2, v2, v1
	v_mul_lo_u32 v1, v2, s19
	v_mad_u64_u32 v[4:5], s[0:1], s41, v2, v[0:1]
	v_ashrrev_i32_e32 v5, 31, v4
	v_sub_u32_e32 v14, v5, v1
	v_add_u32_e32 v14, v0, v14
	v_xor_b32_e32 v13, s25, v5
	v_xor_b32_e32 v5, v14, v5
	v_mul_hi_u32 v14, v5, s27
	v_mul_lo_u32 v15, v14, s22
	v_sub_u32_e32 v5, v5, v15
	v_add_u32_e32 v15, 1, v14
	v_cmp_le_u32_e32 vcc, s22, v5
	v_cndmask_b32_e32 v14, v14, v15, vcc
	v_subrev_u32_e32 v15, s22, v5
	v_cndmask_b32_e32 v5, v5, v15, vcc
	v_add_u32_e32 v15, 1, v14
	v_cmp_le_u32_e32 vcc, s22, v5
	v_cndmask_b32_e32 v5, v14, v15, vcc
	v_xor_b32_e32 v5, v5, v13
	v_mul_lo_u32 v2, s28, v2
	v_sub_u32_e32 v5, v5, v13
	v_ashrrev_i32_e32 v13, 31, v2
	v_mov_b32_e32 v17, s36
	v_add_co_u32_e32 v2, vcc, s35, v2
	v_mad_u64_u32 v[14:15], s[0:1], s3, v5, v[4:5]
	v_mul_lo_u32 v5, s18, v5
	v_addc_co_u32_e32 v13, vcc, v17, v13, vcc
	v_ashrrev_i32_e32 v15, 31, v5
	v_add_co_u32_e32 v2, vcc, v2, v5
	v_addc_co_u32_e32 v5, vcc, v13, v15, vcc
	v_mov_b32_e32 v13, s29
	v_add_co_u32_e32 v2, vcc, s30, v2
	s_waitcnt vmcnt(0)
	v_lshlrev_b32_e32 v6, 16, v6
	v_addc_co_u32_e32 v5, vcc, v5, v13, vcc
	v_div_scale_f32 v13, s[0:1], s37, s37, v6
	v_rcp_f32_e32 v17, v13
	v_ashrrev_i32_e32 v16, 31, v14
	v_add_co_u32_e32 v14, vcc, v2, v14
	v_addc_co_u32_e32 v15, vcc, v5, v16, vcc
	v_fma_f32 v2, -v13, v17, 1.0
	v_fmac_f32_e32 v17, v2, v17
	v_div_scale_f32 v2, vcc, v6, s37, v6
	v_mul_f32_e32 v5, v2, v17
	global_store_byte v[14:15], v7, off
	v_fma_f32 v7, -v13, v5, v2
	v_fmac_f32_e32 v5, v7, v17
	v_fma_f32 v2, -v13, v5, v2
	v_div_fmas_f32 v2, v2, v17, v5
	v_div_fixup_f32 v6, v2, s37, v6
	v_and_b32_sdwa v5, v6, s42 dst_sel:DWORD dst_unused:UNUSED_PAD src0_sel:BYTE_3 src1_sel:DWORD
	v_and_b32_e32 v14, 0x7f800000, v6
	v_mov_b32_e32 v15, v3
	v_and_b32_e32 v2, 0x7fffff, v6
	v_or_b32_e32 v7, 0x7e, v5
	v_cmp_ne_u64_e32 vcc, s[6:7], v[14:15]
	s_and_saveexec_b64 s[0:1], vcc
	s_xor_b64 s[12:13], exec, s[0:1]
	s_cbranch_execz .LBB13_37
; %bb.24:                               ;   in Loop: Header=BB13_7 Depth=1
	v_and_b32_e32 v14, 0x7fffffff, v6
	v_mov_b32_e32 v15, v3
	v_cmp_gt_u64_e32 vcc, s[8:9], v[14:15]
	s_and_saveexec_b64 s[0:1], vcc
	s_xor_b64 s[14:15], exec, s[0:1]
	s_cbranch_execz .LBB13_36
; %bb.25:                               ;   in Loop: Header=BB13_7 Depth=1
	v_cmp_ne_u32_e32 vcc, 0, v6
	v_mov_b32_e32 v7, 0
	s_and_saveexec_b64 s[16:17], vcc
	s_cbranch_execz .LBB13_35
; %bb.26:                               ;   in Loop: Header=BB13_7 Depth=1
	v_bfe_u32 v6, v6, 23, 8
	v_sub_u32_e32 v13, 0x79, v6
	v_cmp_gt_u32_e32 vcc, s43, v6
	v_cndmask_b32_e32 v13, 0, v13, vcc
	v_cmp_eq_u32_e32 vcc, 0, v6
	v_cndmask_b32_e32 v13, v13, v12, vcc
	v_add_u32_e32 v7, 0xffffff81, v6
	v_or_b32_e32 v14, 0x800000, v2
	v_add_u32_e32 v6, 20, v13
	v_cndmask_b32_e32 v15, v7, v11, vcc
	v_cndmask_b32_e32 v2, v14, v2, vcc
	v_lshlrev_b64 v[6:7], v6, -1
	v_not_b32_e32 v6, v6
	v_lshrrev_b64 v[18:19], v13, v[2:3]
	v_not_b32_e32 v7, v7
	v_and_b32_e32 v6, v2, v6
	v_add_u32_e32 v14, 19, v13
	v_lshrrev_b32_e32 v2, 23, v18
	v_and_b32_e32 v7, 0, v7
	v_lshlrev_b64 v[16:17], v14, 1
	v_add3_u32 v14, v13, v15, v2
	v_bfe_u32 v2, v18, 20, 1
	v_add_u32_e32 v2, -1, v2
	v_cmp_eq_u64_e32 vcc, v[6:7], v[16:17]
	v_cndmask_b32_e32 v2, 0, v2, vcc
	v_add_u32_e32 v2, v2, v18
	v_and_b32_e32 v2, 0xfffff, v2
	v_add_co_u32_e32 v6, vcc, v2, v18
	v_add_u32_e32 v13, 6, v14
	v_addc_co_u32_e32 v7, vcc, 0, v19, vcc
	v_cmp_ne_u32_e32 vcc, 0, v13
                                        ; implicit-def: $vgpr2
	s_and_saveexec_b64 s[0:1], vcc
	s_xor_b64 s[0:1], exec, s[0:1]
; %bb.27:                               ;   in Loop: Header=BB13_7 Depth=1
	v_add_u32_e32 v2, 7, v14
	v_cmp_lt_u64_e32 vcc, s[10:11], v[6:7]
	v_cndmask_b32_e32 v2, v13, v2, vcc
	v_cndmask_b32_e64 v13, 0, 1, vcc
	v_lshrrev_b64 v[6:7], v13, v[6:7]
; %bb.28:                               ;   in Loop: Header=BB13_7 Depth=1
	s_andn2_saveexec_b64 s[0:1], s[0:1]
; %bb.29:                               ;   in Loop: Header=BB13_7 Depth=1
	v_bfe_u32 v2, v6, 23, 1
; %bb.30:                               ;   in Loop: Header=BB13_7 Depth=1
	s_or_b64 exec, exec, s[0:1]
	v_lshrrev_b64 v[6:7], 20, v[6:7]
	v_cmp_gt_i32_e32 vcc, 16, v2
	v_cndmask_b32_e32 v7, 0, v7, vcc
	v_cndmask_b32_e32 v6, 7, v6, vcc
	v_cmp_ne_u32_e32 vcc, 0, v2
	v_cmp_ne_u64_e64 s[0:1], 0, v[6:7]
	s_or_b64 s[0:1], vcc, s[0:1]
                                        ; implicit-def: $vgpr7
	s_and_saveexec_b64 s[46:47], s[0:1]
	s_xor_b64 s[0:1], exec, s[46:47]
; %bb.31:                               ;   in Loop: Header=BB13_7 Depth=1
	v_min_i32_e32 v2, 15, v2
	v_lshl_or_b32 v2, v2, 3, v5
	v_and_or_b32 v7, v6, 7, v2
                                        ; implicit-def: $vgpr5
; %bb.32:                               ;   in Loop: Header=BB13_7 Depth=1
	s_andn2_saveexec_b64 s[0:1], s[0:1]
; %bb.33:                               ;   in Loop: Header=BB13_7 Depth=1
	v_mov_b32_e32 v7, v5
; %bb.34:                               ;   in Loop: Header=BB13_7 Depth=1
	s_or_b64 exec, exec, s[0:1]
.LBB13_35:                              ;   in Loop: Header=BB13_7 Depth=1
	s_or_b64 exec, exec, s[16:17]
.LBB13_36:                              ;   in Loop: Header=BB13_7 Depth=1
	s_andn2_saveexec_b64 s[0:1], s[14:15]
	s_or_b64 exec, exec, s[0:1]
                                        ; implicit-def: $vgpr6
.LBB13_37:                              ;   in Loop: Header=BB13_7 Depth=1
	s_andn2_saveexec_b64 s[0:1], s[12:13]
	s_cbranch_execz .LBB13_6
; %bb.38:                               ;   in Loop: Header=BB13_7 Depth=1
	v_or_b32_sdwa v5, v6, s44 dst_sel:DWORD dst_unused:UNUSED_PAD src0_sel:BYTE_3 src1_sel:DWORD
	v_cmp_eq_u64_e32 vcc, 0, v[2:3]
	v_cndmask_b32_e32 v7, v5, v7, vcc
	s_branch .LBB13_6
.LBB13_39:
	s_endpgm
.LBB13_40:
                                        ; implicit-def: $sgpr0_sgpr1
	s_branch .LBB13_3
	.section	.rodata,"a",@progbits
	.p2align	6, 0x0
	.amdhsa_kernel _ZN4vllm24reshape_and_cache_kernelI14__hip_bfloat16hLNS_18Fp8KVCacheDataTypeE1EEEvPKT_S5_PT0_S7_PKliiiiiiPKfSB_
		.amdhsa_group_segment_fixed_size 0
		.amdhsa_private_segment_fixed_size 0
		.amdhsa_kernarg_size 336
		.amdhsa_user_sgpr_count 6
		.amdhsa_user_sgpr_private_segment_buffer 1
		.amdhsa_user_sgpr_dispatch_ptr 0
		.amdhsa_user_sgpr_queue_ptr 0
		.amdhsa_user_sgpr_kernarg_segment_ptr 1
		.amdhsa_user_sgpr_dispatch_id 0
		.amdhsa_user_sgpr_flat_scratch_init 0
		.amdhsa_user_sgpr_kernarg_preload_length 0
		.amdhsa_user_sgpr_kernarg_preload_offset 0
		.amdhsa_user_sgpr_private_segment_size 0
		.amdhsa_uses_dynamic_stack 0
		.amdhsa_system_sgpr_private_segment_wavefront_offset 0
		.amdhsa_system_sgpr_workgroup_id_x 1
		.amdhsa_system_sgpr_workgroup_id_y 0
		.amdhsa_system_sgpr_workgroup_id_z 0
		.amdhsa_system_sgpr_workgroup_info 0
		.amdhsa_system_vgpr_workitem_id 0
		.amdhsa_next_free_vgpr 20
		.amdhsa_next_free_sgpr 48
		.amdhsa_accum_offset 20
		.amdhsa_reserve_vcc 1
		.amdhsa_reserve_flat_scratch 0
		.amdhsa_float_round_mode_32 0
		.amdhsa_float_round_mode_16_64 0
		.amdhsa_float_denorm_mode_32 3
		.amdhsa_float_denorm_mode_16_64 3
		.amdhsa_dx10_clamp 1
		.amdhsa_ieee_mode 1
		.amdhsa_fp16_overflow 0
		.amdhsa_tg_split 0
		.amdhsa_exception_fp_ieee_invalid_op 0
		.amdhsa_exception_fp_denorm_src 0
		.amdhsa_exception_fp_ieee_div_zero 0
		.amdhsa_exception_fp_ieee_overflow 0
		.amdhsa_exception_fp_ieee_underflow 0
		.amdhsa_exception_fp_ieee_inexact 0
		.amdhsa_exception_int_div_zero 0
	.end_amdhsa_kernel
	.section	.text._ZN4vllm24reshape_and_cache_kernelI14__hip_bfloat16hLNS_18Fp8KVCacheDataTypeE1EEEvPKT_S5_PT0_S7_PKliiiiiiPKfSB_,"axG",@progbits,_ZN4vllm24reshape_and_cache_kernelI14__hip_bfloat16hLNS_18Fp8KVCacheDataTypeE1EEEvPKT_S5_PT0_S7_PKliiiiiiPKfSB_,comdat
.Lfunc_end13:
	.size	_ZN4vllm24reshape_and_cache_kernelI14__hip_bfloat16hLNS_18Fp8KVCacheDataTypeE1EEEvPKT_S5_PT0_S7_PKliiiiiiPKfSB_, .Lfunc_end13-_ZN4vllm24reshape_and_cache_kernelI14__hip_bfloat16hLNS_18Fp8KVCacheDataTypeE1EEEvPKT_S5_PT0_S7_PKliiiiiiPKfSB_
                                        ; -- End function
	.section	.AMDGPU.csdata,"",@progbits
; Kernel info:
; codeLenInByte = 2700
; NumSgprs: 52
; NumVgprs: 20
; NumAgprs: 0
; TotalNumVgprs: 20
; ScratchSize: 0
; MemoryBound: 0
; FloatMode: 240
; IeeeMode: 1
; LDSByteSize: 0 bytes/workgroup (compile time only)
; SGPRBlocks: 6
; VGPRBlocks: 2
; NumSGPRsForWavesPerEU: 52
; NumVGPRsForWavesPerEU: 20
; AccumOffset: 20
; Occupancy: 8
; WaveLimiterHint : 0
; COMPUTE_PGM_RSRC2:SCRATCH_EN: 0
; COMPUTE_PGM_RSRC2:USER_SGPR: 6
; COMPUTE_PGM_RSRC2:TRAP_HANDLER: 0
; COMPUTE_PGM_RSRC2:TGID_X_EN: 1
; COMPUTE_PGM_RSRC2:TGID_Y_EN: 0
; COMPUTE_PGM_RSRC2:TGID_Z_EN: 0
; COMPUTE_PGM_RSRC2:TIDIG_COMP_CNT: 0
; COMPUTE_PGM_RSRC3_GFX90A:ACCUM_OFFSET: 4
; COMPUTE_PGM_RSRC3_GFX90A:TG_SPLIT: 0
	.section	.text._ZN4vllm30reshape_and_cache_flash_kernelIffLNS_18Fp8KVCacheDataTypeE0EEEvPKT_S4_PT0_S6_PKlllllliiiPKfSA_,"axG",@progbits,_ZN4vllm30reshape_and_cache_flash_kernelIffLNS_18Fp8KVCacheDataTypeE0EEEvPKT_S4_PT0_S6_PKlllllliiiPKfSA_,comdat
	.protected	_ZN4vllm30reshape_and_cache_flash_kernelIffLNS_18Fp8KVCacheDataTypeE0EEEvPKT_S4_PT0_S6_PKlllllliiiPKfSA_ ; -- Begin function _ZN4vllm30reshape_and_cache_flash_kernelIffLNS_18Fp8KVCacheDataTypeE0EEEvPKT_S4_PT0_S6_PKlllllliiiPKfSA_
	.globl	_ZN4vllm30reshape_and_cache_flash_kernelIffLNS_18Fp8KVCacheDataTypeE0EEEvPKT_S4_PT0_S6_PKlllllliiiPKfSA_
	.p2align	8
	.type	_ZN4vllm30reshape_and_cache_flash_kernelIffLNS_18Fp8KVCacheDataTypeE0EEEvPKT_S4_PT0_S6_PKlllllliiiPKfSA_,@function
_ZN4vllm30reshape_and_cache_flash_kernelIffLNS_18Fp8KVCacheDataTypeE0EEEvPKT_S4_PT0_S6_PKlllllliiiPKfSA_: ; @_ZN4vllm30reshape_and_cache_flash_kernelIffLNS_18Fp8KVCacheDataTypeE0EEEvPKT_S4_PT0_S6_PKlllllliiiPKfSA_
; %bb.0:
	s_load_dwordx2 s[0:1], s[4:5], 0x20
	s_mov_b32 s7, 0
	s_lshl_b64 s[2:3], s[6:7], 3
	s_waitcnt lgkmcnt(0)
	s_add_u32 s0, s0, s2
	s_addc_u32 s1, s1, s3
	s_load_dwordx2 s[2:3], s[0:1], 0x0
	s_waitcnt lgkmcnt(0)
	v_cmp_lt_i64_e64 s[0:1], s[2:3], 0
	s_and_b64 vcc, exec, s[0:1]
	s_cbranch_vccnz .LBB14_139
; %bb.1:
	s_load_dwordx4 s[24:27], s[4:5], 0x50
	s_load_dwordx8 s[16:23], s[4:5], 0x0
	s_waitcnt lgkmcnt(0)
	s_ashr_i32 s27, s26, 31
	s_or_b64 s[0:1], s[2:3], s[26:27]
	s_mov_b32 s0, s7
	s_cmp_lg_u64 s[0:1], 0
	s_cbranch_scc0 .LBB14_140
; %bb.2:
	s_add_u32 s0, s26, s27
	s_mov_b32 s10, s27
	s_mov_b32 s11, s27
	s_addc_u32 s1, s27, s27
	s_xor_b64 s[12:13], s[0:1], s[10:11]
	v_cvt_f32_u32_e32 v1, s12
	v_cvt_f32_u32_e32 v2, s13
	s_sub_u32 s0, 0, s12
	s_subb_u32 s1, 0, s13
	v_madmk_f32 v1, v2, 0x4f800000, v1
	v_rcp_f32_e32 v1, v1
	v_mul_f32_e32 v1, 0x5f7ffffc, v1
	v_mul_f32_e32 v2, 0x2f800000, v1
	v_trunc_f32_e32 v2, v2
	v_madmk_f32 v1, v2, 0xcf800000, v1
	v_cvt_u32_f32_e32 v2, v2
	v_cvt_u32_f32_e32 v1, v1
	v_readfirstlane_b32 s7, v2
	v_readfirstlane_b32 s14, v1
	s_mul_i32 s15, s0, s7
	s_mul_hi_u32 s29, s0, s14
	s_mul_i32 s28, s1, s14
	s_add_i32 s15, s29, s15
	s_add_i32 s15, s15, s28
	s_mul_i32 s30, s0, s14
	s_mul_hi_u32 s28, s14, s15
	s_mul_i32 s29, s14, s15
	s_mul_hi_u32 s14, s14, s30
	s_add_u32 s14, s14, s29
	s_addc_u32 s28, 0, s28
	s_mul_hi_u32 s31, s7, s30
	s_mul_i32 s30, s7, s30
	s_add_u32 s14, s14, s30
	s_mul_hi_u32 s29, s7, s15
	s_addc_u32 s14, s28, s31
	s_addc_u32 s28, s29, 0
	s_mul_i32 s15, s7, s15
	s_add_u32 s14, s14, s15
	s_addc_u32 s15, 0, s28
	v_add_co_u32_e32 v1, vcc, s14, v1
	s_cmp_lg_u64 vcc, 0
	s_addc_u32 s7, s7, s15
	v_readfirstlane_b32 s15, v1
	s_mul_i32 s14, s0, s7
	s_mul_hi_u32 s28, s0, s15
	s_add_i32 s14, s28, s14
	s_mul_i32 s1, s1, s15
	s_add_i32 s14, s14, s1
	s_mul_i32 s0, s0, s15
	s_mul_hi_u32 s28, s7, s0
	s_mul_i32 s29, s7, s0
	s_mul_i32 s31, s15, s14
	s_mul_hi_u32 s0, s15, s0
	s_mul_hi_u32 s30, s15, s14
	s_add_u32 s0, s0, s31
	s_addc_u32 s15, 0, s30
	s_add_u32 s0, s0, s29
	s_mul_hi_u32 s1, s7, s14
	s_addc_u32 s0, s15, s28
	s_addc_u32 s1, s1, 0
	s_mul_i32 s14, s7, s14
	s_add_u32 s0, s0, s14
	s_addc_u32 s1, 0, s1
	v_add_co_u32_e32 v1, vcc, s0, v1
	s_cmp_lg_u64 vcc, 0
	s_addc_u32 s7, s7, s1
	s_ashr_i32 s14, s3, 31
	s_add_u32 s0, s2, s14
	s_mov_b32 s15, s14
	s_addc_u32 s1, s3, s14
	s_xor_b64 s[28:29], s[0:1], s[14:15]
	v_readfirstlane_b32 s30, v1
	s_mul_i32 s1, s28, s7
	s_mul_hi_u32 s31, s28, s30
	s_mul_hi_u32 s0, s28, s7
	s_add_u32 s1, s31, s1
	s_addc_u32 s0, 0, s0
	s_mul_hi_u32 s33, s29, s30
	s_mul_i32 s30, s29, s30
	s_add_u32 s1, s1, s30
	s_mul_hi_u32 s31, s29, s7
	s_addc_u32 s0, s0, s33
	s_addc_u32 s1, s31, 0
	s_mul_i32 s7, s29, s7
	s_add_u32 s7, s0, s7
	s_addc_u32 s30, 0, s1
	s_mul_i32 s0, s12, s30
	s_mul_hi_u32 s1, s12, s7
	s_add_i32 s0, s1, s0
	s_mul_i32 s1, s13, s7
	s_add_i32 s31, s0, s1
	s_mul_i32 s1, s12, s7
	v_mov_b32_e32 v1, s1
	s_sub_i32 s0, s29, s31
	v_sub_co_u32_e32 v1, vcc, s28, v1
	s_cmp_lg_u64 vcc, 0
	s_subb_u32 s28, s0, s13
	v_subrev_co_u32_e64 v2, s[0:1], s12, v1
	s_cmp_lg_u64 s[0:1], 0
	s_subb_u32 s0, s28, 0
	s_cmp_ge_u32 s0, s13
	v_readfirstlane_b32 s28, v2
	s_cselect_b32 s1, -1, 0
	s_cmp_ge_u32 s28, s12
	s_cselect_b32 s28, -1, 0
	s_cmp_eq_u32 s0, s13
	s_cselect_b32 s0, s28, s1
	s_add_u32 s1, s7, 1
	s_addc_u32 s28, s30, 0
	s_add_u32 s33, s7, 2
	s_addc_u32 s34, s30, 0
	s_cmp_lg_u32 s0, 0
	s_cselect_b32 s0, s33, s1
	s_cselect_b32 s1, s34, s28
	s_cmp_lg_u64 vcc, 0
	s_subb_u32 s28, s29, s31
	s_cmp_ge_u32 s28, s13
	v_readfirstlane_b32 s31, v1
	s_cselect_b32 s29, -1, 0
	s_cmp_ge_u32 s31, s12
	s_cselect_b32 s12, -1, 0
	s_cmp_eq_u32 s28, s13
	s_cselect_b32 s12, s12, s29
	s_cmp_lg_u32 s12, 0
	s_cselect_b32 s1, s1, s30
	s_cselect_b32 s0, s0, s7
	s_xor_b64 s[10:11], s[14:15], s[10:11]
	s_xor_b64 s[0:1], s[0:1], s[10:11]
	s_sub_u32 s0, s0, s10
	s_subb_u32 s1, s1, s11
	s_cbranch_execnz .LBB14_4
.LBB14_3:
	v_cvt_f32_u32_e32 v1, s26
	s_sub_i32 s0, 0, s26
	s_mov_b32 s1, 0
	v_rcp_iflag_f32_e32 v1, v1
	v_mul_f32_e32 v1, 0x4f7ffffe, v1
	v_cvt_u32_f32_e32 v1, v1
	v_readfirstlane_b32 s7, v1
	s_mul_i32 s0, s0, s7
	s_mul_hi_u32 s0, s7, s0
	s_add_i32 s7, s7, s0
	s_mul_hi_u32 s0, s2, s7
	s_mul_i32 s8, s0, s26
	s_sub_i32 s8, s2, s8
	s_add_i32 s7, s0, 1
	s_sub_i32 s9, s8, s26
	s_cmp_ge_u32 s8, s26
	s_cselect_b32 s0, s7, s0
	s_cselect_b32 s8, s9, s8
	s_add_i32 s7, s0, 1
	s_cmp_ge_u32 s8, s26
	s_cselect_b32 s0, s7, s0
.LBB14_4:
	s_load_dwordx8 s[8:15], s[4:5], 0x28
	s_mul_i32 s7, s0, s27
	s_mul_hi_u32 s27, s0, s26
	s_add_i32 s7, s27, s7
	s_mul_i32 s27, s1, s26
	s_add_i32 s7, s7, s27
	s_mul_i32 s26, s0, s26
	s_sub_u32 s29, s2, s26
	s_load_dwordx2 s[26:27], s[4:5], 0x48
	s_subb_u32 s30, s3, s7
	s_waitcnt lgkmcnt(0)
	s_mul_i32 s2, s6, s15
	s_mul_hi_u32 s3, s6, s14
	s_add_i32 s3, s3, s2
	s_mul_i32 s2, s6, s14
	s_lshl_b64 s[14:15], s[2:3], 2
	s_add_u32 s34, s16, s14
	s_mul_i32 s2, s6, s27
	s_mul_hi_u32 s3, s6, s26
	s_addc_u32 s35, s17, s15
	s_add_i32 s3, s3, s2
	s_mul_i32 s2, s6, s26
	s_lshl_b64 s[6:7], s[2:3], 2
	s_add_u32 s28, s18, s6
	s_mul_i32 s2, s0, s9
	s_mul_hi_u32 s3, s0, s8
	s_addc_u32 s31, s19, s7
	s_add_i32 s2, s3, s2
	s_mul_i32 s1, s1, s8
	s_add_i32 s1, s2, s1
	s_mul_i32 s0, s0, s8
	s_lshl_b64 s[26:27], s[0:1], 2
	s_add_u32 s2, s20, s26
	s_mul_i32 s0, s29, s11
	s_mul_hi_u32 s1, s29, s10
	s_addc_u32 s3, s21, s27
	s_add_i32 s0, s1, s0
	s_mul_i32 s30, s30, s10
	s_add_i32 s1, s0, s30
	s_mul_i32 s0, s29, s10
	s_lshl_b64 s[10:11], s[0:1], 2
	s_load_dword s4, s[4:5], 0x7c
	s_add_u32 s36, s2, s10
	s_addc_u32 s37, s3, s11
	s_add_u32 s0, s22, s26
	s_addc_u32 s1, s23, s27
	;; [unrolled: 2-line block ×3, first 2 shown]
	s_ashr_i32 s1, s25, 31
	s_mov_b32 s0, s25
	s_waitcnt lgkmcnt(0)
	s_and_b32 s30, s4, 0xffff
	s_cmp_lg_u64 s[0:1], s[12:13]
	s_mov_b64 s[0:1], -1
	s_cbranch_scc0 .LBB14_77
; %bb.5:
	v_lshrrev_b32_e32 v19, 5, v0
	v_cmp_gt_i32_e32 vcc, s24, v19
	s_and_saveexec_b64 s[8:9], vcc
	s_cbranch_execz .LBB14_76
; %bb.6:
	s_lshr_b32 s38, s30, 5
	s_and_b32 s0, s25, 3
	v_and_b32_e32 v2, 31, v0
	s_cmp_eq_u32 s0, 0
	s_cselect_b64 s[50:51], -1, 0
	s_ashr_i32 s39, s25, 2
	v_not_b32_e32 v32, v2
	v_add_u32_e32 v1, s39, v32
	v_lshrrev_b32_e32 v4, 5, v1
	v_add_u32_e32 v4, 1, v4
	v_and_b32_e32 v33, 0xffffffe, v4
	v_mad_u64_u32 v[10:11], s[40:41], s12, v19, 0
	v_mov_b32_e32 v5, 0
	v_cmp_ne_u32_e64 s[4:5], v4, v33
	v_mov_b32_e32 v4, v11
	v_mad_u64_u32 v[12:13], s[40:41], s13, v19, v[4:5]
	v_mov_b32_e32 v11, v12
	s_add_u32 s10, s10, s26
	v_lshlrev_b64 v[10:11], 2, v[10:11]
	s_addc_u32 s11, s11, s27
	v_cmp_lt_u32_e64 s[2:3], 31, v1
	v_mov_b32_e32 v1, s11
	v_add_co_u32_e32 v4, vcc, s10, v10
	v_addc_co_u32_e32 v9, vcc, v1, v11, vcc
	s_mul_i32 s10, s13, s38
	s_mul_hi_u32 s11, s12, s38
	v_add_co_u32_e32 v13, vcc, 8, v4
	s_add_i32 s11, s11, s10
	s_mul_i32 s10, s12, s38
	v_addc_co_u32_e32 v15, vcc, 0, v9, vcc
	s_lshl_b64 s[10:11], s[10:11], 2
	v_mov_b32_e32 v11, s21
	v_add_co_u32_e32 v10, vcc, s20, v13
	s_add_u32 s40, s16, s14
	v_addc_co_u32_e32 v1, vcc, v11, v15, vcc
	s_addc_u32 s41, s17, s15
	s_add_u32 s42, s40, 8
	v_add_co_u32_e32 v14, vcc, s20, v4
	s_addc_u32 s43, s41, 0
	v_addc_co_u32_e32 v11, vcc, v11, v9, vcc
	v_mov_b32_e32 v17, s23
	v_add_co_u32_e32 v16, vcc, s22, v13
	s_add_u32 s45, s18, s6
	v_addc_co_u32_e32 v15, vcc, v17, v15, vcc
	s_addc_u32 s46, s19, s7
	s_add_u32 s47, s45, 8
	v_add_co_u32_e32 v18, vcc, s22, v4
	v_cmp_gt_i32_e64 s[0:1], s39, v2
	v_mov_b32_e32 v3, v5
	v_or_b32_e32 v7, 32, v2
	v_mov_b32_e32 v6, v2
	v_lshl_or_b32 v8, v33, 5, v2
	v_mul_lo_u32 v12, s25, v19
	s_mul_i32 s44, s25, s38
	s_addc_u32 s48, s46, 0
	v_addc_co_u32_e32 v17, vcc, v17, v9, vcc
	s_mov_b64 s[14:15], 0
	v_mov_b32_e32 v34, s35
	v_mov_b32_e32 v35, s37
	s_xor_b64 s[16:17], s[50:51], -1
	s_branch .LBB14_9
.LBB14_7:                               ;   in Loop: Header=BB14_9 Depth=1
	s_or_b64 exec, exec, s[20:21]
.LBB14_8:                               ;   in Loop: Header=BB14_9 Depth=1
	s_or_b64 exec, exec, s[18:19]
	v_mov_b32_e32 v4, s11
	v_add_co_u32_e32 v10, vcc, s10, v10
	v_addc_co_u32_e32 v1, vcc, v1, v4, vcc
	v_add_co_u32_e32 v14, vcc, s10, v14
	v_addc_co_u32_e32 v11, vcc, v11, v4, vcc
	v_add_co_u32_e32 v16, vcc, s10, v16
	v_add_u32_e32 v19, s38, v19
	v_addc_co_u32_e32 v15, vcc, v15, v4, vcc
	v_cmp_le_i32_e32 vcc, s24, v19
	s_or_b64 s[14:15], vcc, s[14:15]
	v_add_co_u32_e32 v18, vcc, s10, v18
	v_add_u32_e32 v12, s44, v12
	v_addc_co_u32_e32 v17, vcc, v17, v4, vcc
	s_andn2_b64 exec, exec, s[14:15]
	s_cbranch_execz .LBB14_76
.LBB14_9:                               ; =>This Loop Header: Depth=1
                                        ;     Child Loop BB14_15 Depth 2
                                        ;     Child Loop BB14_21 Depth 2
	;; [unrolled: 1-line block ×12, first 2 shown]
	v_mul_lo_u32 v22, v19, s25
	v_mad_u64_u32 v[24:25], s[6:7], v19, s12, 0
	v_ashrrev_i32_e32 v23, 31, v22
	v_mov_b32_e32 v4, v25
	v_lshlrev_b64 v[22:23], 2, v[22:23]
	v_mad_u64_u32 v[26:27], s[6:7], v19, s13, v[4:5]
	v_add_co_u32_e32 v9, vcc, s34, v22
	v_mov_b32_e32 v25, v26
	v_addc_co_u32_e32 v30, vcc, v34, v23, vcc
	v_lshlrev_b64 v[24:25], 2, v[24:25]
	v_add_co_u32_e32 v31, vcc, s36, v24
	v_addc_co_u32_e32 v38, vcc, v35, v25, vcc
	v_and_b32_e32 v4, 15, v9
	v_ashrrev_i32_e32 v13, 31, v12
	v_cmp_ne_u64_e32 vcc, 0, v[4:5]
	v_lshlrev_b64 v[20:21], 2, v[12:13]
	s_or_b64 s[6:7], s[16:17], vcc
	s_and_saveexec_b64 s[18:19], s[6:7]
	s_xor_b64 s[18:19], exec, s[18:19]
	s_cbranch_execz .LBB14_31
; %bb.10:                               ;   in Loop: Header=BB14_9 Depth=1
	v_sub_u32_e32 v4, 0, v9
	v_bfe_u32 v4, v4, 2, 2
	v_min_i32_e32 v28, s25, v4
	v_cmp_gt_i32_e32 vcc, v28, v2
	s_and_saveexec_b64 s[6:7], vcc
	s_cbranch_execz .LBB14_12
; %bb.11:                               ;   in Loop: Header=BB14_9 Depth=1
	v_lshlrev_b32_e32 v4, 2, v2
	v_add_co_u32_e32 v26, vcc, v9, v4
	v_addc_co_u32_e32 v27, vcc, 0, v30, vcc
	global_load_dword v13, v[26:27], off
	v_add_co_u32_e32 v26, vcc, v31, v4
	v_addc_co_u32_e32 v27, vcc, 0, v38, vcc
	s_waitcnt vmcnt(0)
	global_store_dword v[26:27], v13, off
.LBB14_12:                              ;   in Loop: Header=BB14_9 Depth=1
	s_or_b64 exec, exec, s[6:7]
	v_ashrrev_i32_e32 v29, 31, v28
	v_lshlrev_b64 v[26:27], 2, v[28:29]
	v_add_co_u32_e32 v13, vcc, v9, v26
	v_sub_u32_e32 v9, s25, v28
	v_ashrrev_i32_e32 v4, 31, v9
	v_addc_co_u32_e32 v36, vcc, v30, v27, vcc
	v_lshrrev_b32_e32 v4, 30, v4
	v_add_co_u32_e32 v37, vcc, v31, v26
	v_add_u32_e32 v4, v9, v4
	v_addc_co_u32_e32 v38, vcc, v38, v27, vcc
	v_ashrrev_i32_e32 v39, 2, v4
	v_cmp_gt_i32_e32 vcc, v39, v2
	s_and_saveexec_b64 s[20:21], vcc
	s_cbranch_execz .LBB14_22
; %bb.13:                               ;   in Loop: Header=BB14_9 Depth=1
	v_add_u32_e32 v30, v39, v32
	v_cmp_lt_u32_e32 vcc, 31, v30
	s_mov_b64 s[6:7], -1
	v_mov_b32_e32 v4, v2
	v_pk_mov_b32 v[28:29], v[2:3], v[2:3] op_sel:[0,1]
	s_and_saveexec_b64 s[22:23], vcc
	s_cbranch_execz .LBB14_19
; %bb.14:                               ;   in Loop: Header=BB14_9 Depth=1
	v_lshrrev_b32_e32 v4, 5, v30
	v_add_u32_e32 v31, 1, v4
	v_and_b32_e32 v30, 0xffffffe, v31
	s_mov_b64 s[26:27], 0
	v_mov_b32_e32 v40, v30
	v_pk_mov_b32 v[28:29], v[6:7], v[6:7] op_sel:[0,1]
.LBB14_15:                              ;   Parent Loop BB14_9 Depth=1
                                        ; =>  This Inner Loop Header: Depth=2
	v_mov_b32_e32 v4, v28
	v_lshlrev_b64 v[50:51], 4, v[4:5]
	v_mov_b32_e32 v4, v29
	v_add_co_u32_e32 v52, vcc, v13, v50
	v_addc_co_u32_e32 v53, vcc, v36, v51, vcc
	v_lshlrev_b64 v[54:55], 4, v[4:5]
	v_add_co_u32_e32 v56, vcc, v13, v54
	v_addc_co_u32_e32 v57, vcc, v36, v55, vcc
	global_load_dwordx4 v[42:45], v[52:53], off
	global_load_dwordx4 v[46:49], v[56:57], off
	v_add_u32_e32 v40, -2, v40
	v_cmp_eq_u32_e32 vcc, 0, v40
	v_add_co_u32_e64 v50, s[6:7], v37, v50
	v_add_u32_e32 v28, 64, v28
	v_add_u32_e32 v29, 64, v29
	v_addc_co_u32_e64 v51, s[6:7], v38, v51, s[6:7]
	s_or_b64 s[26:27], vcc, s[26:27]
	v_add_co_u32_e32 v52, vcc, v37, v54
	v_addc_co_u32_e32 v53, vcc, v38, v55, vcc
	s_waitcnt vmcnt(1)
	global_store_dwordx4 v[50:51], v[42:45], off
	s_waitcnt vmcnt(1)
	global_store_dwordx4 v[52:53], v[46:49], off
	s_andn2_b64 exec, exec, s[26:27]
	s_cbranch_execnz .LBB14_15
; %bb.16:                               ;   in Loop: Header=BB14_9 Depth=1
	s_or_b64 exec, exec, s[26:27]
	v_cmp_ne_u32_e32 vcc, v31, v30
	s_mov_b64 s[6:7], 0
                                        ; implicit-def: $vgpr28_vgpr29
	s_and_saveexec_b64 s[26:27], vcc
	s_xor_b64 s[26:27], exec, s[26:27]
; %bb.17:                               ;   in Loop: Header=BB14_9 Depth=1
	v_lshl_or_b32 v4, v30, 5, v2
	s_mov_b64 s[6:7], exec
	v_pk_mov_b32 v[28:29], v[4:5], v[4:5] op_sel:[0,1]
; %bb.18:                               ;   in Loop: Header=BB14_9 Depth=1
	s_or_b64 exec, exec, s[26:27]
	s_orn2_b64 s[6:7], s[6:7], exec
.LBB14_19:                              ;   in Loop: Header=BB14_9 Depth=1
	s_or_b64 exec, exec, s[22:23]
	s_and_b64 exec, exec, s[6:7]
	s_cbranch_execz .LBB14_22
; %bb.20:                               ;   in Loop: Header=BB14_9 Depth=1
	v_lshlrev_b64 v[28:29], 4, v[28:29]
	v_add_co_u32_e32 v30, vcc, v28, v26
	v_addc_co_u32_e32 v31, vcc, v29, v27, vcc
	v_add_co_u32_e32 v28, vcc, v10, v30
	v_addc_co_u32_e32 v29, vcc, v1, v31, vcc
	v_add_co_u32_e32 v30, vcc, v30, v20
	v_addc_co_u32_e32 v31, vcc, v31, v21, vcc
	v_mov_b32_e32 v40, s43
	v_add_co_u32_e32 v30, vcc, s42, v30
	v_addc_co_u32_e32 v31, vcc, v40, v31, vcc
	s_mov_b64 s[6:7], 0
.LBB14_21:                              ;   Parent Loop BB14_9 Depth=1
                                        ; =>  This Inner Loop Header: Depth=2
	global_load_dwordx4 v[40:43], v[30:31], off offset:-8
	v_add_u32_e32 v4, 32, v4
	v_cmp_ge_i32_e32 vcc, v4, v39
	s_or_b64 s[6:7], vcc, s[6:7]
	s_waitcnt vmcnt(0)
	global_store_dwordx4 v[28:29], v[40:43], off offset:-8
	v_add_co_u32_e32 v28, vcc, 0x200, v28
	v_addc_co_u32_e32 v29, vcc, 0, v29, vcc
	v_add_co_u32_e32 v30, vcc, 0x200, v30
	v_addc_co_u32_e32 v31, vcc, 0, v31, vcc
	s_andn2_b64 exec, exec, s[6:7]
	s_cbranch_execnz .LBB14_21
.LBB14_22:                              ;   in Loop: Header=BB14_9 Depth=1
	s_or_b64 exec, exec, s[20:21]
	v_lshlrev_b32_e32 v4, 2, v39
	v_add_u32_e32 v28, v4, v2
	v_cmp_lt_i32_e32 vcc, v28, v9
	s_and_saveexec_b64 s[20:21], vcc
	s_cbranch_execz .LBB14_30
; %bb.23:                               ;   in Loop: Header=BB14_9 Depth=1
	v_add_u32_e32 v29, v7, v4
	v_max_i32_e32 v29, v29, v9
	v_add_u32_e32 v29, v29, v32
	v_sub_u32_e32 v4, v29, v4
	v_cmp_lt_u32_e32 vcc, 31, v4
	s_mov_b64 s[6:7], -1
	s_and_saveexec_b64 s[22:23], vcc
	s_cbranch_execz .LBB14_27
; %bb.24:                               ;   in Loop: Header=BB14_9 Depth=1
	v_lshrrev_b32_e32 v4, 5, v4
	v_add_u32_e32 v4, 1, v4
	v_and_b32_e32 v39, 0xffffffe, v4
	v_add_u32_e32 v29, 32, v28
	s_mov_b64 s[26:27], 0
	v_mov_b32_e32 v40, v39
	v_pk_mov_b32 v[30:31], v[28:29], v[28:29] op_sel:[0,1]
.LBB14_25:                              ;   Parent Loop BB14_9 Depth=1
                                        ; =>  This Inner Loop Header: Depth=2
	v_ashrrev_i32_e32 v45, 31, v30
	v_mov_b32_e32 v44, v30
	v_lshlrev_b64 v[44:45], 2, v[44:45]
	v_ashrrev_i32_e32 v43, 31, v31
	v_mov_b32_e32 v42, v31
	v_add_co_u32_e32 v46, vcc, v13, v44
	v_lshlrev_b64 v[42:43], 2, v[42:43]
	v_addc_co_u32_e32 v47, vcc, v36, v45, vcc
	v_add_co_u32_e32 v48, vcc, v13, v42
	v_addc_co_u32_e32 v49, vcc, v36, v43, vcc
	global_load_dword v29, v[46:47], off
	global_load_dword v41, v[48:49], off
	v_add_u32_e32 v40, -2, v40
	v_add_co_u32_e64 v44, s[6:7], v37, v44
	v_cmp_eq_u32_e32 vcc, 0, v40
	v_addc_co_u32_e64 v45, s[6:7], v38, v45, s[6:7]
	v_add_u32_e32 v31, 64, v31
	v_add_u32_e32 v30, 64, v30
	v_add_co_u32_e64 v42, s[6:7], v37, v42
	s_or_b64 s[26:27], vcc, s[26:27]
	v_addc_co_u32_e64 v43, s[6:7], v38, v43, s[6:7]
	s_waitcnt vmcnt(1)
	global_store_dword v[44:45], v29, off
	s_waitcnt vmcnt(1)
	global_store_dword v[42:43], v41, off
	s_andn2_b64 exec, exec, s[26:27]
	s_cbranch_execnz .LBB14_25
; %bb.26:                               ;   in Loop: Header=BB14_9 Depth=1
	s_or_b64 exec, exec, s[26:27]
	v_cmp_ne_u32_e32 vcc, v4, v39
	v_lshl_add_u32 v28, v39, 5, v28
	s_orn2_b64 s[6:7], vcc, exec
.LBB14_27:                              ;   in Loop: Header=BB14_9 Depth=1
	s_or_b64 exec, exec, s[22:23]
	s_and_b64 exec, exec, s[6:7]
	s_cbranch_execz .LBB14_30
; %bb.28:                               ;   in Loop: Header=BB14_9 Depth=1
	v_ashrrev_i32_e32 v29, 31, v28
	v_lshlrev_b64 v[30:31], 2, v[28:29]
	v_add_co_u32_e32 v4, vcc, v26, v30
	v_addc_co_u32_e32 v13, vcc, v27, v31, vcc
	v_add_co_u32_e32 v26, vcc, v4, v20
	v_addc_co_u32_e32 v27, vcc, v13, v21, vcc
	v_mov_b32_e32 v29, s41
	v_add_co_u32_e32 v26, vcc, s40, v26
	v_addc_co_u32_e32 v27, vcc, v29, v27, vcc
	v_add_co_u32_e32 v30, vcc, v14, v4
	v_addc_co_u32_e32 v31, vcc, v11, v13, vcc
	s_mov_b64 s[6:7], 0
.LBB14_29:                              ;   Parent Loop BB14_9 Depth=1
                                        ; =>  This Inner Loop Header: Depth=2
	global_load_dword v4, v[26:27], off
	v_add_co_u32_e32 v26, vcc, 0x80, v26
	v_add_u32_e32 v28, 32, v28
	v_addc_co_u32_e32 v27, vcc, 0, v27, vcc
	v_cmp_ge_i32_e32 vcc, v28, v9
	s_or_b64 s[6:7], vcc, s[6:7]
	s_waitcnt vmcnt(0)
	global_store_dword v[30:31], v4, off
	v_add_co_u32_e32 v30, vcc, 0x80, v30
	v_addc_co_u32_e32 v31, vcc, 0, v31, vcc
	s_andn2_b64 exec, exec, s[6:7]
	s_cbranch_execnz .LBB14_29
.LBB14_30:                              ;   in Loop: Header=BB14_9 Depth=1
	s_or_b64 exec, exec, s[20:21]
                                        ; implicit-def: $vgpr9
                                        ; implicit-def: $vgpr30
                                        ; implicit-def: $vgpr31
                                        ; implicit-def: $vgpr38
.LBB14_31:                              ;   in Loop: Header=BB14_9 Depth=1
	s_andn2_saveexec_b64 s[18:19], s[18:19]
	s_cbranch_execz .LBB14_43
; %bb.32:                               ;   in Loop: Header=BB14_9 Depth=1
	s_and_saveexec_b64 s[20:21], s[0:1]
	s_cbranch_execz .LBB14_42
; %bb.33:                               ;   in Loop: Header=BB14_9 Depth=1
	s_mov_b64 s[6:7], -1
	v_mov_b32_e32 v4, v2
	v_pk_mov_b32 v[26:27], v[2:3], v[2:3] op_sel:[0,1]
	s_and_saveexec_b64 s[22:23], s[2:3]
	s_cbranch_execz .LBB14_39
; %bb.34:                               ;   in Loop: Header=BB14_9 Depth=1
	s_mov_b64 s[26:27], 0
	v_mov_b32_e32 v13, v33
	v_pk_mov_b32 v[26:27], v[6:7], v[6:7] op_sel:[0,1]
.LBB14_35:                              ;   Parent Loop BB14_9 Depth=1
                                        ; =>  This Inner Loop Header: Depth=2
	v_mov_b32_e32 v4, v26
	v_lshlrev_b64 v[28:29], 4, v[4:5]
	v_mov_b32_e32 v4, v27
	v_add_co_u32_e32 v36, vcc, v9, v28
	v_addc_co_u32_e32 v37, vcc, v30, v29, vcc
	v_lshlrev_b64 v[48:49], 4, v[4:5]
	v_add_co_u32_e32 v50, vcc, v9, v48
	v_addc_co_u32_e32 v51, vcc, v30, v49, vcc
	global_load_dwordx4 v[40:43], v[36:37], off
	global_load_dwordx4 v[44:47], v[50:51], off
	v_add_u32_e32 v13, -2, v13
	v_cmp_eq_u32_e32 vcc, 0, v13
	v_add_co_u32_e64 v28, s[6:7], v31, v28
	v_add_u32_e32 v26, 64, v26
	v_add_u32_e32 v27, 64, v27
	v_addc_co_u32_e64 v29, s[6:7], v38, v29, s[6:7]
	s_or_b64 s[26:27], vcc, s[26:27]
	v_add_co_u32_e32 v36, vcc, v31, v48
	v_addc_co_u32_e32 v37, vcc, v38, v49, vcc
	s_waitcnt vmcnt(1)
	global_store_dwordx4 v[28:29], v[40:43], off
	s_waitcnt vmcnt(1)
	global_store_dwordx4 v[36:37], v[44:47], off
	s_andn2_b64 exec, exec, s[26:27]
	s_cbranch_execnz .LBB14_35
; %bb.36:                               ;   in Loop: Header=BB14_9 Depth=1
	s_or_b64 exec, exec, s[26:27]
	s_mov_b64 s[6:7], 0
                                        ; implicit-def: $vgpr26_vgpr27
	s_and_saveexec_b64 s[26:27], s[4:5]
; %bb.37:                               ;   in Loop: Header=BB14_9 Depth=1
	v_mov_b32_e32 v9, v5
	s_mov_b64 s[6:7], exec
	v_pk_mov_b32 v[26:27], v[8:9], v[8:9] op_sel:[0,1]
; %bb.38:                               ;   in Loop: Header=BB14_9 Depth=1
	s_or_b64 exec, exec, s[26:27]
	s_orn2_b64 s[6:7], s[6:7], exec
	v_mov_b32_e32 v4, v8
.LBB14_39:                              ;   in Loop: Header=BB14_9 Depth=1
	s_or_b64 exec, exec, s[22:23]
	s_and_b64 exec, exec, s[6:7]
	s_cbranch_execz .LBB14_42
; %bb.40:                               ;   in Loop: Header=BB14_9 Depth=1
	v_mov_b32_e32 v13, s41
	v_add_co_u32_e32 v9, vcc, s40, v20
	v_addc_co_u32_e32 v13, vcc, v13, v21, vcc
	v_lshlrev_b64 v[26:27], 4, v[26:27]
	s_mov_b64 s[6:7], 0
.LBB14_41:                              ;   Parent Loop BB14_9 Depth=1
                                        ; =>  This Inner Loop Header: Depth=2
	v_add_co_u32_e32 v28, vcc, v9, v26
	v_addc_co_u32_e32 v29, vcc, v13, v27, vcc
	global_load_dwordx4 v[28:31], v[28:29], off
	v_add_co_u32_e32 v36, vcc, v10, v26
	v_addc_co_u32_e32 v37, vcc, v1, v27, vcc
	v_add_co_u32_e32 v26, vcc, 0x200, v26
	v_add_u32_e32 v4, 32, v4
	v_addc_co_u32_e32 v27, vcc, 0, v27, vcc
	v_cmp_le_i32_e32 vcc, s39, v4
	s_or_b64 s[6:7], vcc, s[6:7]
	s_waitcnt vmcnt(0)
	global_store_dwordx4 v[36:37], v[28:31], off offset:-8
	s_andn2_b64 exec, exec, s[6:7]
	s_cbranch_execnz .LBB14_41
.LBB14_42:                              ;   in Loop: Header=BB14_9 Depth=1
	s_or_b64 exec, exec, s[20:21]
.LBB14_43:                              ;   in Loop: Header=BB14_9 Depth=1
	s_or_b64 exec, exec, s[18:19]
	v_mov_b32_e32 v4, s31
	v_add_co_u32_e32 v9, vcc, s28, v22
	v_addc_co_u32_e32 v26, vcc, v4, v23, vcc
	v_mov_b32_e32 v4, s33
	v_add_co_u32_e32 v27, vcc, s29, v24
	v_addc_co_u32_e32 v30, vcc, v4, v25, vcc
	v_and_b32_e32 v4, 15, v9
	v_cmp_ne_u64_e32 vcc, 0, v[4:5]
	s_or_b64 s[6:7], s[16:17], vcc
	s_and_saveexec_b64 s[18:19], s[6:7]
	s_xor_b64 s[18:19], exec, s[18:19]
	s_cbranch_execz .LBB14_65
; %bb.44:                               ;   in Loop: Header=BB14_9 Depth=1
	v_sub_u32_e32 v4, 0, v9
	v_bfe_u32 v4, v4, 2, 2
	v_min_i32_e32 v24, s25, v4
	v_cmp_gt_i32_e32 vcc, v24, v2
	s_and_saveexec_b64 s[6:7], vcc
	s_cbranch_execz .LBB14_46
; %bb.45:                               ;   in Loop: Header=BB14_9 Depth=1
	v_lshlrev_b32_e32 v4, 2, v2
	v_add_co_u32_e32 v22, vcc, v9, v4
	v_addc_co_u32_e32 v23, vcc, 0, v26, vcc
	global_load_dword v13, v[22:23], off
	v_add_co_u32_e32 v22, vcc, v27, v4
	v_addc_co_u32_e32 v23, vcc, 0, v30, vcc
	s_waitcnt vmcnt(0)
	global_store_dword v[22:23], v13, off
.LBB14_46:                              ;   in Loop: Header=BB14_9 Depth=1
	s_or_b64 exec, exec, s[6:7]
	v_ashrrev_i32_e32 v25, 31, v24
	v_lshlrev_b64 v[22:23], 2, v[24:25]
	v_add_co_u32_e32 v13, vcc, v9, v22
	v_sub_u32_e32 v9, s25, v24
	v_ashrrev_i32_e32 v4, 31, v9
	v_addc_co_u32_e32 v28, vcc, v26, v23, vcc
	v_lshrrev_b32_e32 v4, 30, v4
	v_add_co_u32_e32 v29, vcc, v27, v22
	v_add_u32_e32 v4, v9, v4
	v_addc_co_u32_e32 v30, vcc, v30, v23, vcc
	v_ashrrev_i32_e32 v31, 2, v4
	v_cmp_gt_i32_e32 vcc, v31, v2
	s_and_saveexec_b64 s[20:21], vcc
	s_cbranch_execz .LBB14_56
; %bb.47:                               ;   in Loop: Header=BB14_9 Depth=1
	v_add_u32_e32 v26, v31, v32
	v_cmp_lt_u32_e32 vcc, 31, v26
	s_mov_b64 s[6:7], -1
	v_mov_b32_e32 v4, v2
	v_pk_mov_b32 v[24:25], v[2:3], v[2:3] op_sel:[0,1]
	s_and_saveexec_b64 s[22:23], vcc
	s_cbranch_execz .LBB14_53
; %bb.48:                               ;   in Loop: Header=BB14_9 Depth=1
	v_lshrrev_b32_e32 v4, 5, v26
	v_add_u32_e32 v27, 1, v4
	v_and_b32_e32 v26, 0xffffffe, v27
	s_mov_b64 s[26:27], 0
	v_mov_b32_e32 v36, v26
	v_pk_mov_b32 v[24:25], v[6:7], v[6:7] op_sel:[0,1]
.LBB14_49:                              ;   Parent Loop BB14_9 Depth=1
                                        ; =>  This Inner Loop Header: Depth=2
	v_mov_b32_e32 v4, v24
	v_lshlrev_b64 v[46:47], 4, v[4:5]
	v_mov_b32_e32 v4, v25
	v_add_co_u32_e32 v48, vcc, v13, v46
	v_addc_co_u32_e32 v49, vcc, v28, v47, vcc
	v_lshlrev_b64 v[50:51], 4, v[4:5]
	v_add_co_u32_e32 v52, vcc, v13, v50
	v_addc_co_u32_e32 v53, vcc, v28, v51, vcc
	global_load_dwordx4 v[38:41], v[48:49], off
	global_load_dwordx4 v[42:45], v[52:53], off
	v_add_u32_e32 v36, -2, v36
	v_cmp_eq_u32_e32 vcc, 0, v36
	v_add_co_u32_e64 v46, s[6:7], v29, v46
	v_add_u32_e32 v24, 64, v24
	v_add_u32_e32 v25, 64, v25
	v_addc_co_u32_e64 v47, s[6:7], v30, v47, s[6:7]
	s_or_b64 s[26:27], vcc, s[26:27]
	v_add_co_u32_e32 v48, vcc, v29, v50
	v_addc_co_u32_e32 v49, vcc, v30, v51, vcc
	s_waitcnt vmcnt(1)
	global_store_dwordx4 v[46:47], v[38:41], off
	s_waitcnt vmcnt(1)
	global_store_dwordx4 v[48:49], v[42:45], off
	s_andn2_b64 exec, exec, s[26:27]
	s_cbranch_execnz .LBB14_49
; %bb.50:                               ;   in Loop: Header=BB14_9 Depth=1
	s_or_b64 exec, exec, s[26:27]
	v_cmp_ne_u32_e32 vcc, v27, v26
	s_mov_b64 s[6:7], 0
                                        ; implicit-def: $vgpr24_vgpr25
	s_and_saveexec_b64 s[26:27], vcc
	s_xor_b64 s[26:27], exec, s[26:27]
; %bb.51:                               ;   in Loop: Header=BB14_9 Depth=1
	v_lshl_or_b32 v4, v26, 5, v2
	s_mov_b64 s[6:7], exec
	v_pk_mov_b32 v[24:25], v[4:5], v[4:5] op_sel:[0,1]
; %bb.52:                               ;   in Loop: Header=BB14_9 Depth=1
	s_or_b64 exec, exec, s[26:27]
	s_orn2_b64 s[6:7], s[6:7], exec
.LBB14_53:                              ;   in Loop: Header=BB14_9 Depth=1
	s_or_b64 exec, exec, s[22:23]
	s_and_b64 exec, exec, s[6:7]
	s_cbranch_execz .LBB14_56
; %bb.54:                               ;   in Loop: Header=BB14_9 Depth=1
	v_lshlrev_b64 v[24:25], 4, v[24:25]
	v_add_co_u32_e32 v26, vcc, v24, v22
	v_addc_co_u32_e32 v27, vcc, v25, v23, vcc
	v_add_co_u32_e32 v24, vcc, v16, v26
	v_addc_co_u32_e32 v25, vcc, v15, v27, vcc
	;; [unrolled: 2-line block ×3, first 2 shown]
	v_mov_b32_e32 v36, s48
	v_add_co_u32_e32 v26, vcc, s47, v26
	v_addc_co_u32_e32 v27, vcc, v36, v27, vcc
	s_mov_b64 s[6:7], 0
.LBB14_55:                              ;   Parent Loop BB14_9 Depth=1
                                        ; =>  This Inner Loop Header: Depth=2
	global_load_dwordx4 v[36:39], v[26:27], off offset:-8
	v_add_u32_e32 v4, 32, v4
	v_cmp_ge_i32_e32 vcc, v4, v31
	s_or_b64 s[6:7], vcc, s[6:7]
	s_waitcnt vmcnt(0)
	global_store_dwordx4 v[24:25], v[36:39], off offset:-8
	v_add_co_u32_e32 v24, vcc, 0x200, v24
	v_addc_co_u32_e32 v25, vcc, 0, v25, vcc
	v_add_co_u32_e32 v26, vcc, 0x200, v26
	v_addc_co_u32_e32 v27, vcc, 0, v27, vcc
	s_andn2_b64 exec, exec, s[6:7]
	s_cbranch_execnz .LBB14_55
.LBB14_56:                              ;   in Loop: Header=BB14_9 Depth=1
	s_or_b64 exec, exec, s[20:21]
	v_lshlrev_b32_e32 v4, 2, v31
	v_add_u32_e32 v24, v4, v2
	v_cmp_lt_i32_e32 vcc, v24, v9
	s_and_saveexec_b64 s[20:21], vcc
	s_cbranch_execz .LBB14_64
; %bb.57:                               ;   in Loop: Header=BB14_9 Depth=1
	v_add_u32_e32 v25, v7, v4
	v_max_i32_e32 v25, v25, v9
	v_add_u32_e32 v25, v25, v32
	v_sub_u32_e32 v4, v25, v4
	v_cmp_lt_u32_e32 vcc, 31, v4
	s_mov_b64 s[6:7], -1
	s_and_saveexec_b64 s[22:23], vcc
	s_cbranch_execz .LBB14_61
; %bb.58:                               ;   in Loop: Header=BB14_9 Depth=1
	v_lshrrev_b32_e32 v4, 5, v4
	v_add_u32_e32 v4, 1, v4
	v_and_b32_e32 v31, 0xffffffe, v4
	v_add_u32_e32 v25, 32, v24
	s_mov_b64 s[26:27], 0
	v_mov_b32_e32 v36, v31
	v_pk_mov_b32 v[26:27], v[24:25], v[24:25] op_sel:[0,1]
.LBB14_59:                              ;   Parent Loop BB14_9 Depth=1
                                        ; =>  This Inner Loop Header: Depth=2
	v_ashrrev_i32_e32 v41, 31, v26
	v_mov_b32_e32 v40, v26
	v_lshlrev_b64 v[40:41], 2, v[40:41]
	v_ashrrev_i32_e32 v39, 31, v27
	v_mov_b32_e32 v38, v27
	v_add_co_u32_e32 v42, vcc, v13, v40
	v_lshlrev_b64 v[38:39], 2, v[38:39]
	v_addc_co_u32_e32 v43, vcc, v28, v41, vcc
	v_add_co_u32_e32 v44, vcc, v13, v38
	v_addc_co_u32_e32 v45, vcc, v28, v39, vcc
	global_load_dword v25, v[42:43], off
	global_load_dword v37, v[44:45], off
	v_add_u32_e32 v36, -2, v36
	v_add_co_u32_e64 v40, s[6:7], v29, v40
	v_cmp_eq_u32_e32 vcc, 0, v36
	v_addc_co_u32_e64 v41, s[6:7], v30, v41, s[6:7]
	v_add_u32_e32 v27, 64, v27
	v_add_u32_e32 v26, 64, v26
	v_add_co_u32_e64 v38, s[6:7], v29, v38
	s_or_b64 s[26:27], vcc, s[26:27]
	v_addc_co_u32_e64 v39, s[6:7], v30, v39, s[6:7]
	s_waitcnt vmcnt(1)
	global_store_dword v[40:41], v25, off
	s_waitcnt vmcnt(1)
	global_store_dword v[38:39], v37, off
	s_andn2_b64 exec, exec, s[26:27]
	s_cbranch_execnz .LBB14_59
; %bb.60:                               ;   in Loop: Header=BB14_9 Depth=1
	s_or_b64 exec, exec, s[26:27]
	v_cmp_ne_u32_e32 vcc, v4, v31
	v_lshl_add_u32 v24, v31, 5, v24
	s_orn2_b64 s[6:7], vcc, exec
.LBB14_61:                              ;   in Loop: Header=BB14_9 Depth=1
	s_or_b64 exec, exec, s[22:23]
	s_and_b64 exec, exec, s[6:7]
	s_cbranch_execz .LBB14_64
; %bb.62:                               ;   in Loop: Header=BB14_9 Depth=1
	v_ashrrev_i32_e32 v25, 31, v24
	v_lshlrev_b64 v[26:27], 2, v[24:25]
	v_add_co_u32_e32 v4, vcc, v22, v26
	v_addc_co_u32_e32 v13, vcc, v23, v27, vcc
	v_add_co_u32_e32 v20, vcc, v4, v20
	v_addc_co_u32_e32 v21, vcc, v13, v21, vcc
	v_mov_b32_e32 v22, s46
	v_add_co_u32_e32 v20, vcc, s45, v20
	v_addc_co_u32_e32 v21, vcc, v22, v21, vcc
	v_add_co_u32_e32 v22, vcc, v18, v4
	v_addc_co_u32_e32 v23, vcc, v17, v13, vcc
	s_mov_b64 s[6:7], 0
.LBB14_63:                              ;   Parent Loop BB14_9 Depth=1
                                        ; =>  This Inner Loop Header: Depth=2
	global_load_dword v4, v[20:21], off
	v_add_co_u32_e32 v20, vcc, 0x80, v20
	v_add_u32_e32 v24, 32, v24
	v_addc_co_u32_e32 v21, vcc, 0, v21, vcc
	v_cmp_ge_i32_e32 vcc, v24, v9
	s_or_b64 s[6:7], vcc, s[6:7]
	s_waitcnt vmcnt(0)
	global_store_dword v[22:23], v4, off
	v_add_co_u32_e32 v22, vcc, 0x80, v22
	v_addc_co_u32_e32 v23, vcc, 0, v23, vcc
	s_andn2_b64 exec, exec, s[6:7]
	s_cbranch_execnz .LBB14_63
.LBB14_64:                              ;   in Loop: Header=BB14_9 Depth=1
	s_or_b64 exec, exec, s[20:21]
                                        ; implicit-def: $vgpr20_vgpr21
                                        ; implicit-def: $vgpr9
                                        ; implicit-def: $vgpr26
                                        ; implicit-def: $vgpr27
                                        ; implicit-def: $vgpr30
.LBB14_65:                              ;   in Loop: Header=BB14_9 Depth=1
	s_andn2_saveexec_b64 s[18:19], s[18:19]
	s_cbranch_execz .LBB14_8
; %bb.66:                               ;   in Loop: Header=BB14_9 Depth=1
	s_and_saveexec_b64 s[20:21], s[0:1]
	s_cbranch_execz .LBB14_7
; %bb.67:                               ;   in Loop: Header=BB14_9 Depth=1
	s_mov_b64 s[6:7], -1
	v_mov_b32_e32 v4, v2
	v_pk_mov_b32 v[22:23], v[2:3], v[2:3] op_sel:[0,1]
	s_and_saveexec_b64 s[22:23], s[2:3]
	s_cbranch_execz .LBB14_73
; %bb.68:                               ;   in Loop: Header=BB14_9 Depth=1
	s_mov_b64 s[26:27], 0
	v_mov_b32_e32 v13, v33
	v_pk_mov_b32 v[22:23], v[6:7], v[6:7] op_sel:[0,1]
.LBB14_69:                              ;   Parent Loop BB14_9 Depth=1
                                        ; =>  This Inner Loop Header: Depth=2
	v_mov_b32_e32 v4, v22
	v_lshlrev_b64 v[24:25], 4, v[4:5]
	v_mov_b32_e32 v4, v23
	v_add_co_u32_e32 v28, vcc, v9, v24
	v_addc_co_u32_e32 v29, vcc, v26, v25, vcc
	v_lshlrev_b64 v[44:45], 4, v[4:5]
	v_add_co_u32_e32 v46, vcc, v9, v44
	v_addc_co_u32_e32 v47, vcc, v26, v45, vcc
	global_load_dwordx4 v[36:39], v[28:29], off
	global_load_dwordx4 v[40:43], v[46:47], off
	v_add_u32_e32 v13, -2, v13
	v_cmp_eq_u32_e32 vcc, 0, v13
	v_add_co_u32_e64 v24, s[6:7], v27, v24
	v_add_u32_e32 v22, 64, v22
	v_add_u32_e32 v23, 64, v23
	v_addc_co_u32_e64 v25, s[6:7], v30, v25, s[6:7]
	s_or_b64 s[26:27], vcc, s[26:27]
	v_add_co_u32_e32 v28, vcc, v27, v44
	v_addc_co_u32_e32 v29, vcc, v30, v45, vcc
	s_waitcnt vmcnt(1)
	global_store_dwordx4 v[24:25], v[36:39], off
	s_waitcnt vmcnt(1)
	global_store_dwordx4 v[28:29], v[40:43], off
	s_andn2_b64 exec, exec, s[26:27]
	s_cbranch_execnz .LBB14_69
; %bb.70:                               ;   in Loop: Header=BB14_9 Depth=1
	s_or_b64 exec, exec, s[26:27]
	s_mov_b64 s[6:7], 0
                                        ; implicit-def: $vgpr22_vgpr23
	s_and_saveexec_b64 s[26:27], s[4:5]
; %bb.71:                               ;   in Loop: Header=BB14_9 Depth=1
	v_mov_b32_e32 v9, v5
	s_mov_b64 s[6:7], exec
	v_pk_mov_b32 v[22:23], v[8:9], v[8:9] op_sel:[0,1]
; %bb.72:                               ;   in Loop: Header=BB14_9 Depth=1
	s_or_b64 exec, exec, s[26:27]
	s_orn2_b64 s[6:7], s[6:7], exec
	v_mov_b32_e32 v4, v8
.LBB14_73:                              ;   in Loop: Header=BB14_9 Depth=1
	s_or_b64 exec, exec, s[22:23]
	s_and_b64 exec, exec, s[6:7]
	s_cbranch_execz .LBB14_7
; %bb.74:                               ;   in Loop: Header=BB14_9 Depth=1
	v_mov_b32_e32 v13, s46
	v_add_co_u32_e32 v9, vcc, s45, v20
	v_addc_co_u32_e32 v13, vcc, v13, v21, vcc
	v_lshlrev_b64 v[20:21], 4, v[22:23]
	s_mov_b64 s[6:7], 0
.LBB14_75:                              ;   Parent Loop BB14_9 Depth=1
                                        ; =>  This Inner Loop Header: Depth=2
	v_add_co_u32_e32 v22, vcc, v9, v20
	v_addc_co_u32_e32 v23, vcc, v13, v21, vcc
	global_load_dwordx4 v[22:25], v[22:23], off
	v_add_co_u32_e32 v26, vcc, v16, v20
	v_addc_co_u32_e32 v27, vcc, v15, v21, vcc
	v_add_co_u32_e32 v20, vcc, 0x200, v20
	v_add_u32_e32 v4, 32, v4
	v_addc_co_u32_e32 v21, vcc, 0, v21, vcc
	v_cmp_le_i32_e32 vcc, s39, v4
	s_or_b64 s[6:7], vcc, s[6:7]
	s_waitcnt vmcnt(0)
	global_store_dwordx4 v[26:27], v[22:25], off offset:-8
	s_andn2_b64 exec, exec, s[6:7]
	s_cbranch_execnz .LBB14_75
	s_branch .LBB14_7
.LBB14_76:
	s_or_b64 exec, exec, s[8:9]
	s_mov_b64 s[0:1], 0
.LBB14_77:
	s_andn2_b64 vcc, exec, s[0:1]
	s_cbranch_vccnz .LBB14_139
; %bb.78:
	s_and_b32 s0, s34, 15
	s_mov_b32 s1, 0
	s_mul_i32 s12, s25, s24
	s_cmp_lg_u64 s[0:1], 0
	s_cselect_b64 s[0:1], -1, 0
	s_and_b32 s4, s12, 3
	s_cmp_eq_u32 s4, 0
	s_cselect_b64 s[2:3], -1, 0
	s_cmp_lg_u32 s4, 0
	s_cselect_b64 s[4:5], -1, 0
	s_or_b64 s[4:5], s[0:1], s[4:5]
	s_mov_b64 s[0:1], -1
	s_and_b64 vcc, exec, s[4:5]
	s_cbranch_vccz .LBB14_99
; %bb.79:
	s_sub_i32 s0, 0, s34
	s_bfe_u32 s0, s0, 0x20002
	s_min_i32 s0, s0, s12
	v_cmp_gt_i32_e32 vcc, s0, v0
	s_and_saveexec_b64 s[4:5], vcc
	s_cbranch_execz .LBB14_82
; %bb.80:
	s_mov_b32 s8, 0
	v_lshlrev_b32_e32 v2, 2, v0
	v_mov_b32_e32 v1, 0
	s_lshl_b32 s1, s30, 2
	s_mov_b64 s[6:7], 0
	v_mov_b32_e32 v3, s37
	v_mov_b32_e32 v4, s35
	;; [unrolled: 1-line block ×4, first 2 shown]
.LBB14_81:                              ; =>This Inner Loop Header: Depth=1
	v_add_co_u32_e32 v8, vcc, s34, v2
	v_addc_co_u32_e32 v9, vcc, v4, v1, vcc
	global_load_dword v7, v[8:9], off
	v_add_co_u32_e32 v8, vcc, s36, v2
	v_addc_co_u32_e32 v9, vcc, v3, v1, vcc
	v_add_co_u32_e32 v2, vcc, s1, v2
	v_add_u32_e32 v6, s30, v6
	v_addc_co_u32_e32 v1, vcc, v1, v5, vcc
	v_cmp_le_i32_e32 vcc, s0, v6
	s_or_b64 s[6:7], vcc, s[6:7]
	s_waitcnt vmcnt(0)
	global_store_dword v[8:9], v7, off
	s_andn2_b64 exec, exec, s[6:7]
	s_cbranch_execnz .LBB14_81
.LBB14_82:
	s_or_b64 exec, exec, s[4:5]
	s_ashr_i32 s1, s0, 31
	s_lshl_b64 s[4:5], s[0:1], 2
	s_add_u32 s14, s34, s4
	s_addc_u32 s16, s35, s5
	s_add_u32 s15, s36, s4
	s_addc_u32 s17, s37, s5
	s_sub_i32 s13, s12, s0
	s_ashr_i32 s0, s13, 31
	s_lshr_b32 s0, s0, 30
	s_add_i32 s0, s13, s0
	s_ashr_i32 s18, s0, 2
	v_cmp_gt_i32_e32 vcc, s18, v0
	s_and_saveexec_b64 s[6:7], vcc
	s_cbranch_execz .LBB14_90
; %bb.83:
	v_cvt_f32_u32_e32 v1, s30
	v_add_u32_e32 v2, s30, v0
	v_mov_b32_e32 v3, s30
	s_sub_i32 s8, 0, s30
	v_rcp_iflag_f32_e32 v1, v1
	v_cmp_gt_i32_e32 vcc, s18, v2
	v_max_i32_e32 v4, s18, v2
	v_addc_co_u32_e64 v2, s[0:1], v0, v3, vcc
	v_mul_f32_e32 v1, 0x4f7ffffe, v1
	v_cvt_u32_f32_e32 v1, v1
	v_sub_u32_e32 v2, v4, v2
	s_cmp_eq_u32 s30, 1
	v_mul_lo_u32 v3, s8, v1
	v_mul_hi_u32 v3, v1, v3
	v_add_u32_e32 v1, v1, v3
	v_mul_hi_u32 v1, v2, v1
	v_mul_lo_u32 v3, v1, s30
	v_sub_u32_e32 v2, v2, v3
	v_add_u32_e32 v4, 1, v1
	v_cmp_le_u32_e64 s[0:1], s30, v2
	v_subrev_u32_e32 v3, s30, v2
	v_cndmask_b32_e64 v1, v1, v4, s[0:1]
	v_cndmask_b32_e64 v2, v2, v3, s[0:1]
	v_add_u32_e32 v3, 1, v1
	v_cmp_le_u32_e64 s[0:1], s30, v2
	v_cndmask_b32_e64 v1, v1, v3, s[0:1]
	v_addc_co_u32_e32 v6, vcc, 1, v1, vcc
	v_cmp_lt_u32_e32 vcc, 1, v6
	s_cselect_b64 s[0:1], -1, 0
	s_and_b64 s[10:11], vcc, s[0:1]
	s_mov_b64 s[0:1], -1
	v_mov_b32_e32 v2, v0
	s_and_saveexec_b64 s[8:9], s[10:11]
	s_cbranch_execz .LBB14_87
; %bb.84:
	v_and_b32_e32 v7, -2, v6
	v_add_u32_e32 v1, 1, v0
	s_mov_b64 s[10:11], 0
	v_mov_b32_e32 v8, s16
	v_mov_b32_e32 v9, s17
	;; [unrolled: 1-line block ×4, first 2 shown]
	v_pk_mov_b32 v[4:5], v[0:1], v[0:1] op_sel:[0,1]
.LBB14_85:                              ; =>This Inner Loop Header: Depth=1
	v_mov_b32_e32 v2, v4
	v_lshlrev_b64 v[20:21], 4, v[2:3]
	v_mov_b32_e32 v2, v5
	v_add_co_u32_e32 v22, vcc, s14, v20
	v_addc_co_u32_e32 v23, vcc, v8, v21, vcc
	v_lshlrev_b64 v[24:25], 4, v[2:3]
	v_add_co_u32_e32 v26, vcc, s14, v24
	v_addc_co_u32_e32 v27, vcc, v8, v25, vcc
	global_load_dwordx4 v[12:15], v[22:23], off
	global_load_dwordx4 v[16:19], v[26:27], off
	v_add_u32_e32 v10, -2, v10
	v_cmp_eq_u32_e32 vcc, 0, v10
	v_add_co_u32_e64 v20, s[0:1], s15, v20
	v_add_u32_e32 v4, 2, v4
	v_add_u32_e32 v5, 2, v5
	v_addc_co_u32_e64 v21, s[0:1], v9, v21, s[0:1]
	s_or_b64 s[10:11], vcc, s[10:11]
	v_add_co_u32_e32 v22, vcc, s15, v24
	v_addc_co_u32_e32 v23, vcc, v9, v25, vcc
	s_waitcnt vmcnt(1)
	global_store_dwordx4 v[20:21], v[12:15], off
	s_waitcnt vmcnt(1)
	global_store_dwordx4 v[22:23], v[16:19], off
	s_andn2_b64 exec, exec, s[10:11]
	s_cbranch_execnz .LBB14_85
; %bb.86:
	s_or_b64 exec, exec, s[10:11]
	v_cmp_ne_u32_e32 vcc, v6, v7
	v_add_u32_e32 v2, v0, v7
	s_orn2_b64 s[0:1], vcc, exec
.LBB14_87:
	s_or_b64 exec, exec, s[8:9]
	s_and_b64 exec, exec, s[0:1]
	s_cbranch_execz .LBB14_90
; %bb.88:
	v_mov_b32_e32 v3, 0
	v_lshlrev_b64 v[4:5], 4, v[2:3]
	v_mov_b32_e32 v1, s5
	v_add_co_u32_e32 v3, vcc, s4, v4
	v_addc_co_u32_e32 v1, vcc, v5, v1, vcc
	s_mov_b32 s9, 0
	v_add_co_u32_e32 v4, vcc, 8, v3
	v_addc_co_u32_e32 v1, vcc, 0, v1, vcc
	s_lshl_b32 s8, s30, 4
	s_mov_b64 s[0:1], 0
	v_mov_b32_e32 v3, s35
	v_mov_b32_e32 v5, s37
	;; [unrolled: 1-line block ×3, first 2 shown]
.LBB14_89:                              ; =>This Inner Loop Header: Depth=1
	v_add_co_u32_e32 v8, vcc, s34, v4
	v_addc_co_u32_e32 v9, vcc, v3, v1, vcc
	global_load_dwordx4 v[8:11], v[8:9], off offset:-8
	v_add_co_u32_e32 v12, vcc, s36, v4
	v_addc_co_u32_e32 v13, vcc, v5, v1, vcc
	v_add_co_u32_e32 v4, vcc, s8, v4
	v_add_u32_e32 v2, s30, v2
	v_addc_co_u32_e32 v1, vcc, v1, v6, vcc
	v_cmp_le_i32_e32 vcc, s18, v2
	s_or_b64 s[0:1], vcc, s[0:1]
	s_waitcnt vmcnt(0)
	global_store_dwordx4 v[12:13], v[8:11], off offset:-8
	s_andn2_b64 exec, exec, s[0:1]
	s_cbranch_execnz .LBB14_89
.LBB14_90:
	s_or_b64 exec, exec, s[6:7]
	v_lshl_add_u32 v2, s18, 2, v0
	v_cmp_gt_i32_e32 vcc, s13, v2
	s_and_saveexec_b64 s[6:7], vcc
	s_cbranch_execz .LBB14_98
; %bb.91:
	v_cvt_f32_u32_e32 v1, s30
	v_add_u32_e32 v3, s30, v2
	v_mov_b32_e32 v4, s30
	s_sub_i32 s8, 0, s30
	v_rcp_iflag_f32_e32 v1, v1
	v_cmp_gt_i32_e32 vcc, s13, v3
	v_max_i32_e32 v5, s13, v3
	v_addc_co_u32_e64 v3, s[0:1], v2, v4, vcc
	v_mul_f32_e32 v1, 0x4f7ffffe, v1
	v_cvt_u32_f32_e32 v1, v1
	v_sub_u32_e32 v3, v5, v3
	s_cmp_eq_u32 s30, 1
	v_mul_lo_u32 v4, s8, v1
	v_mul_hi_u32 v4, v1, v4
	v_add_u32_e32 v1, v1, v4
	v_mul_hi_u32 v1, v3, v1
	v_mul_lo_u32 v4, v1, s30
	v_sub_u32_e32 v3, v3, v4
	v_add_u32_e32 v5, 1, v1
	v_cmp_le_u32_e64 s[0:1], s30, v3
	v_subrev_u32_e32 v4, s30, v3
	v_cndmask_b32_e64 v1, v1, v5, s[0:1]
	v_cndmask_b32_e64 v3, v3, v4, s[0:1]
	v_add_u32_e32 v4, 1, v1
	v_cmp_le_u32_e64 s[0:1], s30, v3
	v_cndmask_b32_e64 v1, v1, v4, s[0:1]
	v_addc_co_u32_e32 v1, vcc, 1, v1, vcc
	v_cmp_lt_u32_e32 vcc, 15, v1
	s_cselect_b64 s[0:1], -1, 0
	s_and_b64 s[10:11], vcc, s[0:1]
	s_mov_b64 s[0:1], -1
	s_and_saveexec_b64 s[8:9], s[10:11]
	s_cbranch_execz .LBB14_95
; %bb.92:
	v_and_b32_e32 v3, -16, v1
	s_mov_b64 s[10:11], 0
	v_mov_b32_e32 v6, s17
	v_mov_b32_e32 v7, s16
	;; [unrolled: 1-line block ×4, first 2 shown]
.LBB14_93:                              ; =>This Inner Loop Header: Depth=1
	v_ashrrev_i32_e32 v5, 31, v4
	v_lshlrev_b64 v[26:27], 2, v[4:5]
	v_add_co_u32_e32 v28, vcc, s14, v26
	v_addc_co_u32_e32 v29, vcc, v7, v27, vcc
	global_load_dwordx4 v[10:13], v[28:29], off
	global_load_dwordx4 v[14:17], v[28:29], off offset:16
	global_load_dwordx4 v[18:21], v[28:29], off offset:32
	;; [unrolled: 1-line block ×3, first 2 shown]
	v_add_u32_e32 v8, -16, v8
	v_cmp_eq_u32_e32 vcc, 0, v8
	v_add_co_u32_e64 v26, s[0:1], s15, v26
	v_addc_co_u32_e64 v27, s[0:1], v6, v27, s[0:1]
	s_or_b64 s[10:11], vcc, s[10:11]
	v_add_u32_e32 v4, 16, v4
	s_waitcnt vmcnt(3)
	global_store_dwordx4 v[26:27], v[10:13], off
	s_waitcnt vmcnt(3)
	global_store_dwordx4 v[26:27], v[14:17], off offset:16
	s_waitcnt vmcnt(3)
	global_store_dwordx4 v[26:27], v[18:21], off offset:32
	;; [unrolled: 2-line block ×3, first 2 shown]
	s_andn2_b64 exec, exec, s[10:11]
	s_cbranch_execnz .LBB14_93
; %bb.94:
	s_or_b64 exec, exec, s[10:11]
	v_cmp_ne_u32_e32 vcc, v1, v3
	v_add_u32_e32 v2, v2, v3
	s_orn2_b64 s[0:1], vcc, exec
.LBB14_95:
	s_or_b64 exec, exec, s[8:9]
	s_and_b64 exec, exec, s[0:1]
	s_cbranch_execz .LBB14_98
; %bb.96:
	v_ashrrev_i32_e32 v3, 31, v2
	v_lshlrev_b64 v[4:5], 2, v[2:3]
	v_mov_b32_e32 v1, s5
	v_add_co_u32_e32 v4, vcc, s4, v4
	s_mov_b32 s5, 0
	v_addc_co_u32_e32 v1, vcc, v1, v5, vcc
	s_lshl_b32 s4, s30, 2
	s_mov_b64 s[0:1], 0
	v_mov_b32_e32 v3, s37
	v_mov_b32_e32 v5, s35
	;; [unrolled: 1-line block ×3, first 2 shown]
.LBB14_97:                              ; =>This Inner Loop Header: Depth=1
	v_add_co_u32_e32 v8, vcc, s34, v4
	v_addc_co_u32_e32 v9, vcc, v5, v1, vcc
	global_load_dword v7, v[8:9], off
	v_add_co_u32_e32 v8, vcc, s36, v4
	v_addc_co_u32_e32 v9, vcc, v3, v1, vcc
	v_add_co_u32_e32 v4, vcc, s4, v4
	v_add_u32_e32 v2, s30, v2
	v_addc_co_u32_e32 v1, vcc, v1, v6, vcc
	v_cmp_le_i32_e32 vcc, s13, v2
	s_or_b64 s[0:1], vcc, s[0:1]
	s_waitcnt vmcnt(0)
	global_store_dword v[8:9], v7, off
	s_andn2_b64 exec, exec, s[0:1]
	s_cbranch_execnz .LBB14_97
.LBB14_98:
	s_or_b64 exec, exec, s[6:7]
	s_mov_b64 s[0:1], 0
.LBB14_99:
	s_and_b64 vcc, exec, s[0:1]
	s_cbranch_vccz .LBB14_109
; %bb.100:
	s_ashr_i32 s10, s12, 2
	v_cmp_gt_i32_e32 vcc, s10, v0
	s_and_saveexec_b64 s[4:5], vcc
	s_cbranch_execz .LBB14_108
; %bb.101:
	v_cvt_f32_u32_e32 v1, s30
	v_add_u32_e32 v2, s30, v0
	v_mov_b32_e32 v3, s30
	s_sub_i32 s6, 0, s30
	v_rcp_iflag_f32_e32 v1, v1
	v_cmp_gt_i32_e32 vcc, s10, v2
	v_max_i32_e32 v4, s10, v2
	v_addc_co_u32_e64 v2, s[0:1], v0, v3, vcc
	v_mul_f32_e32 v1, 0x4f7ffffe, v1
	v_cvt_u32_f32_e32 v1, v1
	v_sub_u32_e32 v2, v4, v2
	s_cmp_eq_u32 s30, 1
	v_mul_lo_u32 v3, s6, v1
	v_mul_hi_u32 v3, v1, v3
	v_add_u32_e32 v1, v1, v3
	v_mul_hi_u32 v1, v2, v1
	v_mul_lo_u32 v3, v1, s30
	v_sub_u32_e32 v2, v2, v3
	v_add_u32_e32 v4, 1, v1
	v_cmp_le_u32_e64 s[0:1], s30, v2
	v_subrev_u32_e32 v3, s30, v2
	v_cndmask_b32_e64 v1, v1, v4, s[0:1]
	v_cndmask_b32_e64 v2, v2, v3, s[0:1]
	v_add_u32_e32 v3, 1, v1
	v_cmp_le_u32_e64 s[0:1], s30, v2
	v_cndmask_b32_e64 v1, v1, v3, s[0:1]
	v_addc_co_u32_e32 v6, vcc, 1, v1, vcc
	v_cmp_lt_u32_e32 vcc, 1, v6
	s_cselect_b64 s[0:1], -1, 0
	s_and_b64 s[8:9], vcc, s[0:1]
	s_mov_b64 s[0:1], -1
	v_mov_b32_e32 v2, v0
	s_and_saveexec_b64 s[6:7], s[8:9]
	s_cbranch_execz .LBB14_105
; %bb.102:
	v_and_b32_e32 v7, -2, v6
	v_add_u32_e32 v1, 1, v0
	s_mov_b64 s[8:9], 0
	v_mov_b32_e32 v8, s35
	v_mov_b32_e32 v9, s37
	;; [unrolled: 1-line block ×4, first 2 shown]
	v_pk_mov_b32 v[4:5], v[0:1], v[0:1] op_sel:[0,1]
.LBB14_103:                             ; =>This Inner Loop Header: Depth=1
	v_mov_b32_e32 v2, v4
	v_lshlrev_b64 v[20:21], 4, v[2:3]
	v_mov_b32_e32 v2, v5
	v_add_co_u32_e32 v22, vcc, s34, v20
	v_addc_co_u32_e32 v23, vcc, v8, v21, vcc
	v_lshlrev_b64 v[24:25], 4, v[2:3]
	v_add_co_u32_e32 v26, vcc, s34, v24
	v_addc_co_u32_e32 v27, vcc, v8, v25, vcc
	global_load_dwordx4 v[12:15], v[22:23], off
	global_load_dwordx4 v[16:19], v[26:27], off
	v_add_u32_e32 v10, -2, v10
	v_cmp_eq_u32_e32 vcc, 0, v10
	v_add_co_u32_e64 v20, s[0:1], s36, v20
	v_add_u32_e32 v4, 2, v4
	v_add_u32_e32 v5, 2, v5
	v_addc_co_u32_e64 v21, s[0:1], v9, v21, s[0:1]
	s_or_b64 s[8:9], vcc, s[8:9]
	v_add_co_u32_e32 v22, vcc, s36, v24
	v_addc_co_u32_e32 v23, vcc, v9, v25, vcc
	s_waitcnt vmcnt(1)
	global_store_dwordx4 v[20:21], v[12:15], off
	s_waitcnt vmcnt(1)
	global_store_dwordx4 v[22:23], v[16:19], off
	s_andn2_b64 exec, exec, s[8:9]
	s_cbranch_execnz .LBB14_103
; %bb.104:
	s_or_b64 exec, exec, s[8:9]
	v_cmp_ne_u32_e32 vcc, v6, v7
	v_add_u32_e32 v2, v0, v7
	s_orn2_b64 s[0:1], vcc, exec
.LBB14_105:
	s_or_b64 exec, exec, s[6:7]
	s_and_b64 exec, exec, s[0:1]
	s_cbranch_execz .LBB14_108
; %bb.106:
	v_mov_b32_e32 v3, 0
	s_mov_b32 s7, 0
	v_lshlrev_b64 v[4:5], 4, v[2:3]
	v_or_b32_e32 v4, 8, v4
	s_lshl_b32 s6, s30, 4
	s_mov_b64 s[0:1], 0
	v_mov_b32_e32 v1, s35
	v_mov_b32_e32 v3, s37
	;; [unrolled: 1-line block ×3, first 2 shown]
.LBB14_107:                             ; =>This Inner Loop Header: Depth=1
	v_add_co_u32_e32 v8, vcc, s34, v4
	v_addc_co_u32_e32 v9, vcc, v1, v5, vcc
	global_load_dwordx4 v[8:11], v[8:9], off offset:-8
	v_add_co_u32_e32 v12, vcc, s36, v4
	v_addc_co_u32_e32 v13, vcc, v3, v5, vcc
	v_add_co_u32_e32 v4, vcc, s6, v4
	v_add_u32_e32 v2, s30, v2
	v_addc_co_u32_e32 v5, vcc, v5, v6, vcc
	v_cmp_le_i32_e32 vcc, s10, v2
	s_or_b64 s[0:1], vcc, s[0:1]
	s_waitcnt vmcnt(0)
	global_store_dwordx4 v[12:13], v[8:11], off offset:-8
	s_andn2_b64 exec, exec, s[0:1]
	s_cbranch_execnz .LBB14_107
.LBB14_108:
	s_or_b64 exec, exec, s[4:5]
.LBB14_109:
	s_and_b32 s0, s28, 15
	s_mov_b32 s1, 0
	s_cmp_lg_u64 s[0:1], 0
	s_cselect_b64 s[4:5], -1, 0
	s_xor_b64 s[2:3], s[2:3], -1
	s_or_b64 s[2:3], s[2:3], s[4:5]
	s_mov_b64 s[0:1], -1
	s_and_b64 vcc, exec, s[2:3]
	s_cbranch_vccz .LBB14_130
; %bb.110:
	s_sub_i32 s0, 0, s28
	s_bfe_u32 s0, s0, 0x20002
	s_min_i32 s0, s0, s12
	v_cmp_gt_i32_e32 vcc, s0, v0
	s_and_saveexec_b64 s[2:3], vcc
	s_cbranch_execz .LBB14_113
; %bb.111:
	s_mov_b32 s6, 0
	v_lshlrev_b32_e32 v2, 2, v0
	v_mov_b32_e32 v1, 0
	s_lshl_b32 s1, s30, 2
	s_mov_b64 s[4:5], 0
	v_mov_b32_e32 v3, s33
	v_mov_b32_e32 v4, s31
	;; [unrolled: 1-line block ×4, first 2 shown]
.LBB14_112:                             ; =>This Inner Loop Header: Depth=1
	v_add_co_u32_e32 v8, vcc, s28, v2
	v_addc_co_u32_e32 v9, vcc, v4, v1, vcc
	global_load_dword v7, v[8:9], off
	v_add_co_u32_e32 v8, vcc, s29, v2
	v_addc_co_u32_e32 v9, vcc, v3, v1, vcc
	v_add_co_u32_e32 v2, vcc, s1, v2
	v_add_u32_e32 v6, s30, v6
	v_addc_co_u32_e32 v1, vcc, v1, v5, vcc
	v_cmp_le_i32_e32 vcc, s0, v6
	s_or_b64 s[4:5], vcc, s[4:5]
	s_waitcnt vmcnt(0)
	global_store_dword v[8:9], v7, off
	s_andn2_b64 exec, exec, s[4:5]
	s_cbranch_execnz .LBB14_112
.LBB14_113:
	s_or_b64 exec, exec, s[2:3]
	s_ashr_i32 s1, s0, 31
	s_lshl_b64 s[2:3], s[0:1], 2
	s_add_u32 s11, s28, s2
	s_addc_u32 s14, s31, s3
	s_add_u32 s13, s29, s2
	s_addc_u32 s15, s33, s3
	s_sub_i32 s10, s12, s0
	s_ashr_i32 s0, s10, 31
	s_lshr_b32 s0, s0, 30
	s_add_i32 s0, s10, s0
	s_ashr_i32 s16, s0, 2
	v_cmp_gt_i32_e32 vcc, s16, v0
	s_and_saveexec_b64 s[4:5], vcc
	s_cbranch_execz .LBB14_121
; %bb.114:
	v_cvt_f32_u32_e32 v1, s30
	v_add_u32_e32 v2, s30, v0
	v_mov_b32_e32 v3, s30
	s_sub_i32 s6, 0, s30
	v_rcp_iflag_f32_e32 v1, v1
	v_cmp_gt_i32_e32 vcc, s16, v2
	v_max_i32_e32 v4, s16, v2
	v_addc_co_u32_e64 v2, s[0:1], v0, v3, vcc
	v_mul_f32_e32 v1, 0x4f7ffffe, v1
	v_cvt_u32_f32_e32 v1, v1
	v_sub_u32_e32 v2, v4, v2
	s_cmp_eq_u32 s30, 1
	v_mul_lo_u32 v3, s6, v1
	v_mul_hi_u32 v3, v1, v3
	v_add_u32_e32 v1, v1, v3
	v_mul_hi_u32 v1, v2, v1
	v_mul_lo_u32 v3, v1, s30
	v_sub_u32_e32 v2, v2, v3
	v_add_u32_e32 v4, 1, v1
	v_cmp_le_u32_e64 s[0:1], s30, v2
	v_subrev_u32_e32 v3, s30, v2
	v_cndmask_b32_e64 v1, v1, v4, s[0:1]
	v_cndmask_b32_e64 v2, v2, v3, s[0:1]
	v_add_u32_e32 v3, 1, v1
	v_cmp_le_u32_e64 s[0:1], s30, v2
	v_cndmask_b32_e64 v1, v1, v3, s[0:1]
	v_addc_co_u32_e32 v6, vcc, 1, v1, vcc
	v_cmp_lt_u32_e32 vcc, 1, v6
	s_cselect_b64 s[0:1], -1, 0
	s_and_b64 s[8:9], vcc, s[0:1]
	s_mov_b64 s[0:1], -1
	v_mov_b32_e32 v2, v0
	s_and_saveexec_b64 s[6:7], s[8:9]
	s_cbranch_execz .LBB14_118
; %bb.115:
	v_and_b32_e32 v7, -2, v6
	v_add_u32_e32 v1, 1, v0
	s_mov_b64 s[8:9], 0
	v_mov_b32_e32 v8, s14
	v_mov_b32_e32 v9, s15
	;; [unrolled: 1-line block ×4, first 2 shown]
	v_pk_mov_b32 v[4:5], v[0:1], v[0:1] op_sel:[0,1]
.LBB14_116:                             ; =>This Inner Loop Header: Depth=1
	v_mov_b32_e32 v2, v4
	v_lshlrev_b64 v[20:21], 4, v[2:3]
	v_mov_b32_e32 v2, v5
	v_add_co_u32_e32 v22, vcc, s11, v20
	v_addc_co_u32_e32 v23, vcc, v8, v21, vcc
	v_lshlrev_b64 v[24:25], 4, v[2:3]
	v_add_co_u32_e32 v26, vcc, s11, v24
	v_addc_co_u32_e32 v27, vcc, v8, v25, vcc
	global_load_dwordx4 v[12:15], v[22:23], off
	global_load_dwordx4 v[16:19], v[26:27], off
	v_add_u32_e32 v10, -2, v10
	v_cmp_eq_u32_e32 vcc, 0, v10
	v_add_co_u32_e64 v20, s[0:1], s13, v20
	v_add_u32_e32 v4, 2, v4
	v_add_u32_e32 v5, 2, v5
	v_addc_co_u32_e64 v21, s[0:1], v9, v21, s[0:1]
	s_or_b64 s[8:9], vcc, s[8:9]
	v_add_co_u32_e32 v22, vcc, s13, v24
	v_addc_co_u32_e32 v23, vcc, v9, v25, vcc
	s_waitcnt vmcnt(1)
	global_store_dwordx4 v[20:21], v[12:15], off
	s_waitcnt vmcnt(1)
	global_store_dwordx4 v[22:23], v[16:19], off
	s_andn2_b64 exec, exec, s[8:9]
	s_cbranch_execnz .LBB14_116
; %bb.117:
	s_or_b64 exec, exec, s[8:9]
	v_cmp_ne_u32_e32 vcc, v6, v7
	v_add_u32_e32 v2, v0, v7
	s_orn2_b64 s[0:1], vcc, exec
.LBB14_118:
	s_or_b64 exec, exec, s[6:7]
	s_and_b64 exec, exec, s[0:1]
	s_cbranch_execz .LBB14_121
; %bb.119:
	v_mov_b32_e32 v3, 0
	v_lshlrev_b64 v[4:5], 4, v[2:3]
	v_mov_b32_e32 v1, s3
	v_add_co_u32_e32 v3, vcc, s2, v4
	v_addc_co_u32_e32 v1, vcc, v5, v1, vcc
	s_mov_b32 s7, 0
	v_add_co_u32_e32 v4, vcc, 8, v3
	v_addc_co_u32_e32 v1, vcc, 0, v1, vcc
	s_lshl_b32 s6, s30, 4
	s_mov_b64 s[0:1], 0
	v_mov_b32_e32 v3, s31
	v_mov_b32_e32 v5, s33
	;; [unrolled: 1-line block ×3, first 2 shown]
.LBB14_120:                             ; =>This Inner Loop Header: Depth=1
	v_add_co_u32_e32 v8, vcc, s28, v4
	v_addc_co_u32_e32 v9, vcc, v3, v1, vcc
	global_load_dwordx4 v[8:11], v[8:9], off offset:-8
	v_add_co_u32_e32 v12, vcc, s29, v4
	v_addc_co_u32_e32 v13, vcc, v5, v1, vcc
	v_add_co_u32_e32 v4, vcc, s6, v4
	v_add_u32_e32 v2, s30, v2
	v_addc_co_u32_e32 v1, vcc, v1, v6, vcc
	v_cmp_le_i32_e32 vcc, s16, v2
	s_or_b64 s[0:1], vcc, s[0:1]
	s_waitcnt vmcnt(0)
	global_store_dwordx4 v[12:13], v[8:11], off offset:-8
	s_andn2_b64 exec, exec, s[0:1]
	s_cbranch_execnz .LBB14_120
.LBB14_121:
	s_or_b64 exec, exec, s[4:5]
	v_lshl_add_u32 v2, s16, 2, v0
	v_cmp_gt_i32_e32 vcc, s10, v2
	s_and_saveexec_b64 s[4:5], vcc
	s_cbranch_execz .LBB14_129
; %bb.122:
	v_cvt_f32_u32_e32 v1, s30
	v_add_u32_e32 v3, s30, v2
	v_mov_b32_e32 v4, s30
	s_sub_i32 s6, 0, s30
	v_rcp_iflag_f32_e32 v1, v1
	v_cmp_gt_i32_e32 vcc, s10, v3
	v_max_i32_e32 v5, s10, v3
	v_addc_co_u32_e64 v3, s[0:1], v2, v4, vcc
	v_mul_f32_e32 v1, 0x4f7ffffe, v1
	v_cvt_u32_f32_e32 v1, v1
	v_sub_u32_e32 v3, v5, v3
	s_cmp_eq_u32 s30, 1
	v_mul_lo_u32 v4, s6, v1
	v_mul_hi_u32 v4, v1, v4
	v_add_u32_e32 v1, v1, v4
	v_mul_hi_u32 v1, v3, v1
	v_mul_lo_u32 v4, v1, s30
	v_sub_u32_e32 v3, v3, v4
	v_add_u32_e32 v5, 1, v1
	v_cmp_le_u32_e64 s[0:1], s30, v3
	v_subrev_u32_e32 v4, s30, v3
	v_cndmask_b32_e64 v1, v1, v5, s[0:1]
	v_cndmask_b32_e64 v3, v3, v4, s[0:1]
	v_add_u32_e32 v4, 1, v1
	v_cmp_le_u32_e64 s[0:1], s30, v3
	v_cndmask_b32_e64 v1, v1, v4, s[0:1]
	v_addc_co_u32_e32 v1, vcc, 1, v1, vcc
	v_cmp_lt_u32_e32 vcc, 15, v1
	s_cselect_b64 s[0:1], -1, 0
	s_and_b64 s[8:9], vcc, s[0:1]
	s_mov_b64 s[0:1], -1
	s_and_saveexec_b64 s[6:7], s[8:9]
	s_cbranch_execz .LBB14_126
; %bb.123:
	v_and_b32_e32 v3, -16, v1
	s_mov_b64 s[8:9], 0
	v_mov_b32_e32 v6, s15
	v_mov_b32_e32 v7, s14
	;; [unrolled: 1-line block ×4, first 2 shown]
.LBB14_124:                             ; =>This Inner Loop Header: Depth=1
	v_ashrrev_i32_e32 v5, 31, v4
	v_lshlrev_b64 v[26:27], 2, v[4:5]
	v_add_co_u32_e32 v28, vcc, s11, v26
	v_addc_co_u32_e32 v29, vcc, v7, v27, vcc
	global_load_dwordx4 v[10:13], v[28:29], off
	global_load_dwordx4 v[14:17], v[28:29], off offset:16
	global_load_dwordx4 v[18:21], v[28:29], off offset:32
	;; [unrolled: 1-line block ×3, first 2 shown]
	v_add_u32_e32 v8, -16, v8
	v_cmp_eq_u32_e32 vcc, 0, v8
	v_add_co_u32_e64 v26, s[0:1], s13, v26
	v_addc_co_u32_e64 v27, s[0:1], v6, v27, s[0:1]
	s_or_b64 s[8:9], vcc, s[8:9]
	v_add_u32_e32 v4, 16, v4
	s_waitcnt vmcnt(3)
	global_store_dwordx4 v[26:27], v[10:13], off
	s_waitcnt vmcnt(3)
	global_store_dwordx4 v[26:27], v[14:17], off offset:16
	s_waitcnt vmcnt(3)
	global_store_dwordx4 v[26:27], v[18:21], off offset:32
	;; [unrolled: 2-line block ×3, first 2 shown]
	s_andn2_b64 exec, exec, s[8:9]
	s_cbranch_execnz .LBB14_124
; %bb.125:
	s_or_b64 exec, exec, s[8:9]
	v_cmp_ne_u32_e32 vcc, v1, v3
	v_add_u32_e32 v2, v2, v3
	s_orn2_b64 s[0:1], vcc, exec
.LBB14_126:
	s_or_b64 exec, exec, s[6:7]
	s_and_b64 exec, exec, s[0:1]
	s_cbranch_execz .LBB14_129
; %bb.127:
	v_ashrrev_i32_e32 v3, 31, v2
	v_lshlrev_b64 v[4:5], 2, v[2:3]
	v_mov_b32_e32 v1, s3
	v_add_co_u32_e32 v4, vcc, s2, v4
	s_mov_b32 s3, 0
	v_addc_co_u32_e32 v1, vcc, v1, v5, vcc
	s_lshl_b32 s2, s30, 2
	s_mov_b64 s[0:1], 0
	v_mov_b32_e32 v3, s33
	v_mov_b32_e32 v5, s31
	;; [unrolled: 1-line block ×3, first 2 shown]
.LBB14_128:                             ; =>This Inner Loop Header: Depth=1
	v_add_co_u32_e32 v8, vcc, s28, v4
	v_addc_co_u32_e32 v9, vcc, v5, v1, vcc
	global_load_dword v7, v[8:9], off
	v_add_co_u32_e32 v8, vcc, s29, v4
	v_addc_co_u32_e32 v9, vcc, v3, v1, vcc
	v_add_co_u32_e32 v4, vcc, s2, v4
	v_add_u32_e32 v2, s30, v2
	v_addc_co_u32_e32 v1, vcc, v1, v6, vcc
	v_cmp_le_i32_e32 vcc, s10, v2
	s_or_b64 s[0:1], vcc, s[0:1]
	s_waitcnt vmcnt(0)
	global_store_dword v[8:9], v7, off
	s_andn2_b64 exec, exec, s[0:1]
	s_cbranch_execnz .LBB14_128
.LBB14_129:
	s_or_b64 exec, exec, s[4:5]
	s_mov_b64 s[0:1], 0
.LBB14_130:
	s_and_b64 vcc, exec, s[0:1]
	s_cbranch_vccz .LBB14_139
; %bb.131:
	s_ashr_i32 s6, s12, 2
	v_cmp_gt_i32_e32 vcc, s6, v0
	s_and_saveexec_b64 s[0:1], vcc
	s_cbranch_execz .LBB14_139
; %bb.132:
	v_cvt_f32_u32_e32 v1, s30
	v_add_u32_e32 v2, s30, v0
	v_mov_b32_e32 v3, s30
	s_sub_i32 s2, 0, s30
	v_rcp_iflag_f32_e32 v1, v1
	v_cmp_gt_i32_e32 vcc, s6, v2
	v_max_i32_e32 v4, s6, v2
	v_addc_co_u32_e64 v2, s[0:1], v0, v3, vcc
	v_mul_f32_e32 v1, 0x4f7ffffe, v1
	v_cvt_u32_f32_e32 v1, v1
	v_sub_u32_e32 v2, v4, v2
	s_cmp_eq_u32 s30, 1
	v_mul_lo_u32 v3, s2, v1
	v_mul_hi_u32 v3, v1, v3
	v_add_u32_e32 v1, v1, v3
	v_mul_hi_u32 v1, v2, v1
	v_mul_lo_u32 v3, v1, s30
	v_sub_u32_e32 v2, v2, v3
	v_add_u32_e32 v4, 1, v1
	v_cmp_le_u32_e64 s[0:1], s30, v2
	v_subrev_u32_e32 v3, s30, v2
	v_cndmask_b32_e64 v1, v1, v4, s[0:1]
	v_cndmask_b32_e64 v2, v2, v3, s[0:1]
	v_add_u32_e32 v3, 1, v1
	v_cmp_le_u32_e64 s[0:1], s30, v2
	v_cndmask_b32_e64 v1, v1, v3, s[0:1]
	v_addc_co_u32_e32 v6, vcc, 1, v1, vcc
	v_cmp_lt_u32_e32 vcc, 1, v6
	s_cselect_b64 s[0:1], -1, 0
	s_and_b64 s[4:5], vcc, s[0:1]
	s_mov_b64 s[0:1], -1
	s_and_saveexec_b64 s[2:3], s[4:5]
	s_cbranch_execz .LBB14_136
; %bb.133:
	v_and_b32_e32 v7, -2, v6
	v_add_u32_e32 v1, 1, v0
	s_mov_b64 s[4:5], 0
	v_mov_b32_e32 v8, s31
	v_mov_b32_e32 v9, s33
	;; [unrolled: 1-line block ×4, first 2 shown]
	v_pk_mov_b32 v[4:5], v[0:1], v[0:1] op_sel:[0,1]
.LBB14_134:                             ; =>This Inner Loop Header: Depth=1
	v_mov_b32_e32 v2, v4
	v_lshlrev_b64 v[20:21], 4, v[2:3]
	v_mov_b32_e32 v2, v5
	v_add_co_u32_e32 v22, vcc, s28, v20
	v_addc_co_u32_e32 v23, vcc, v8, v21, vcc
	v_lshlrev_b64 v[24:25], 4, v[2:3]
	v_add_co_u32_e32 v26, vcc, s28, v24
	v_addc_co_u32_e32 v27, vcc, v8, v25, vcc
	global_load_dwordx4 v[12:15], v[22:23], off
	global_load_dwordx4 v[16:19], v[26:27], off
	v_add_u32_e32 v10, -2, v10
	v_cmp_eq_u32_e32 vcc, 0, v10
	v_add_co_u32_e64 v20, s[0:1], s29, v20
	v_add_u32_e32 v4, 2, v4
	v_add_u32_e32 v5, 2, v5
	v_addc_co_u32_e64 v21, s[0:1], v9, v21, s[0:1]
	s_or_b64 s[4:5], vcc, s[4:5]
	v_add_co_u32_e32 v22, vcc, s29, v24
	v_addc_co_u32_e32 v23, vcc, v9, v25, vcc
	s_waitcnt vmcnt(1)
	global_store_dwordx4 v[20:21], v[12:15], off
	s_waitcnt vmcnt(1)
	global_store_dwordx4 v[22:23], v[16:19], off
	s_andn2_b64 exec, exec, s[4:5]
	s_cbranch_execnz .LBB14_134
; %bb.135:
	s_or_b64 exec, exec, s[4:5]
	v_cmp_ne_u32_e32 vcc, v6, v7
	v_add_u32_e32 v0, v0, v7
	s_orn2_b64 s[0:1], vcc, exec
.LBB14_136:
	s_or_b64 exec, exec, s[2:3]
	s_and_b64 exec, exec, s[0:1]
	s_cbranch_execz .LBB14_139
; %bb.137:
	v_mov_b32_e32 v1, 0
	s_mov_b32 s3, 0
	v_lshlrev_b64 v[2:3], 4, v[0:1]
	v_or_b32_e32 v2, 8, v2
	s_lshl_b32 s2, s30, 4
	s_mov_b64 s[0:1], 0
	v_mov_b32_e32 v1, s31
	v_mov_b32_e32 v4, s33
	;; [unrolled: 1-line block ×3, first 2 shown]
.LBB14_138:                             ; =>This Inner Loop Header: Depth=1
	v_add_co_u32_e32 v6, vcc, s28, v2
	v_addc_co_u32_e32 v7, vcc, v1, v3, vcc
	global_load_dwordx4 v[6:9], v[6:7], off offset:-8
	v_add_co_u32_e32 v10, vcc, s29, v2
	v_addc_co_u32_e32 v11, vcc, v4, v3, vcc
	v_add_co_u32_e32 v2, vcc, s2, v2
	v_add_u32_e32 v0, s30, v0
	v_addc_co_u32_e32 v3, vcc, v3, v5, vcc
	v_cmp_le_i32_e32 vcc, s6, v0
	s_or_b64 s[0:1], vcc, s[0:1]
	s_waitcnt vmcnt(0)
	global_store_dwordx4 v[10:11], v[6:9], off offset:-8
	s_andn2_b64 exec, exec, s[0:1]
	s_cbranch_execnz .LBB14_138
.LBB14_139:
	s_endpgm
.LBB14_140:
                                        ; implicit-def: $sgpr0_sgpr1
	s_branch .LBB14_3
	.section	.rodata,"a",@progbits
	.p2align	6, 0x0
	.amdhsa_kernel _ZN4vllm30reshape_and_cache_flash_kernelIffLNS_18Fp8KVCacheDataTypeE0EEEvPKT_S4_PT0_S6_PKlllllliiiPKfSA_
		.amdhsa_group_segment_fixed_size 0
		.amdhsa_private_segment_fixed_size 0
		.amdhsa_kernarg_size 368
		.amdhsa_user_sgpr_count 6
		.amdhsa_user_sgpr_private_segment_buffer 1
		.amdhsa_user_sgpr_dispatch_ptr 0
		.amdhsa_user_sgpr_queue_ptr 0
		.amdhsa_user_sgpr_kernarg_segment_ptr 1
		.amdhsa_user_sgpr_dispatch_id 0
		.amdhsa_user_sgpr_flat_scratch_init 0
		.amdhsa_user_sgpr_kernarg_preload_length 0
		.amdhsa_user_sgpr_kernarg_preload_offset 0
		.amdhsa_user_sgpr_private_segment_size 0
		.amdhsa_uses_dynamic_stack 0
		.amdhsa_system_sgpr_private_segment_wavefront_offset 0
		.amdhsa_system_sgpr_workgroup_id_x 1
		.amdhsa_system_sgpr_workgroup_id_y 0
		.amdhsa_system_sgpr_workgroup_id_z 0
		.amdhsa_system_sgpr_workgroup_info 0
		.amdhsa_system_vgpr_workitem_id 0
		.amdhsa_next_free_vgpr 58
		.amdhsa_next_free_sgpr 52
		.amdhsa_accum_offset 60
		.amdhsa_reserve_vcc 1
		.amdhsa_reserve_flat_scratch 0
		.amdhsa_float_round_mode_32 0
		.amdhsa_float_round_mode_16_64 0
		.amdhsa_float_denorm_mode_32 3
		.amdhsa_float_denorm_mode_16_64 3
		.amdhsa_dx10_clamp 1
		.amdhsa_ieee_mode 1
		.amdhsa_fp16_overflow 0
		.amdhsa_tg_split 0
		.amdhsa_exception_fp_ieee_invalid_op 0
		.amdhsa_exception_fp_denorm_src 0
		.amdhsa_exception_fp_ieee_div_zero 0
		.amdhsa_exception_fp_ieee_overflow 0
		.amdhsa_exception_fp_ieee_underflow 0
		.amdhsa_exception_fp_ieee_inexact 0
		.amdhsa_exception_int_div_zero 0
	.end_amdhsa_kernel
	.section	.text._ZN4vllm30reshape_and_cache_flash_kernelIffLNS_18Fp8KVCacheDataTypeE0EEEvPKT_S4_PT0_S6_PKlllllliiiPKfSA_,"axG",@progbits,_ZN4vllm30reshape_and_cache_flash_kernelIffLNS_18Fp8KVCacheDataTypeE0EEEvPKT_S4_PT0_S6_PKlllllliiiPKfSA_,comdat
.Lfunc_end14:
	.size	_ZN4vllm30reshape_and_cache_flash_kernelIffLNS_18Fp8KVCacheDataTypeE0EEEvPKT_S4_PT0_S6_PKlllllliiiPKfSA_, .Lfunc_end14-_ZN4vllm30reshape_and_cache_flash_kernelIffLNS_18Fp8KVCacheDataTypeE0EEEvPKT_S4_PT0_S6_PKlllllliiiPKfSA_
                                        ; -- End function
	.section	.AMDGPU.csdata,"",@progbits
; Kernel info:
; codeLenInByte = 7464
; NumSgprs: 56
; NumVgprs: 58
; NumAgprs: 0
; TotalNumVgprs: 58
; ScratchSize: 0
; MemoryBound: 0
; FloatMode: 240
; IeeeMode: 1
; LDSByteSize: 0 bytes/workgroup (compile time only)
; SGPRBlocks: 6
; VGPRBlocks: 7
; NumSGPRsForWavesPerEU: 56
; NumVGPRsForWavesPerEU: 58
; AccumOffset: 60
; Occupancy: 8
; WaveLimiterHint : 0
; COMPUTE_PGM_RSRC2:SCRATCH_EN: 0
; COMPUTE_PGM_RSRC2:USER_SGPR: 6
; COMPUTE_PGM_RSRC2:TRAP_HANDLER: 0
; COMPUTE_PGM_RSRC2:TGID_X_EN: 1
; COMPUTE_PGM_RSRC2:TGID_Y_EN: 0
; COMPUTE_PGM_RSRC2:TGID_Z_EN: 0
; COMPUTE_PGM_RSRC2:TIDIG_COMP_CNT: 0
; COMPUTE_PGM_RSRC3_GFX90A:ACCUM_OFFSET: 14
; COMPUTE_PGM_RSRC3_GFX90A:TG_SPLIT: 0
	.section	.text._ZN4vllm30reshape_and_cache_flash_kernelIttLNS_18Fp8KVCacheDataTypeE0EEEvPKT_S4_PT0_S6_PKlllllliiiPKfSA_,"axG",@progbits,_ZN4vllm30reshape_and_cache_flash_kernelIttLNS_18Fp8KVCacheDataTypeE0EEEvPKT_S4_PT0_S6_PKlllllliiiPKfSA_,comdat
	.protected	_ZN4vllm30reshape_and_cache_flash_kernelIttLNS_18Fp8KVCacheDataTypeE0EEEvPKT_S4_PT0_S6_PKlllllliiiPKfSA_ ; -- Begin function _ZN4vllm30reshape_and_cache_flash_kernelIttLNS_18Fp8KVCacheDataTypeE0EEEvPKT_S4_PT0_S6_PKlllllliiiPKfSA_
	.globl	_ZN4vllm30reshape_and_cache_flash_kernelIttLNS_18Fp8KVCacheDataTypeE0EEEvPKT_S4_PT0_S6_PKlllllliiiPKfSA_
	.p2align	8
	.type	_ZN4vllm30reshape_and_cache_flash_kernelIttLNS_18Fp8KVCacheDataTypeE0EEEvPKT_S4_PT0_S6_PKlllllliiiPKfSA_,@function
_ZN4vllm30reshape_and_cache_flash_kernelIttLNS_18Fp8KVCacheDataTypeE0EEEvPKT_S4_PT0_S6_PKlllllliiiPKfSA_: ; @_ZN4vllm30reshape_and_cache_flash_kernelIttLNS_18Fp8KVCacheDataTypeE0EEEvPKT_S4_PT0_S6_PKlllllliiiPKfSA_
; %bb.0:
	s_load_dwordx2 s[0:1], s[4:5], 0x20
	s_mov_b32 s7, 0
	s_lshl_b64 s[2:3], s[6:7], 3
	s_waitcnt lgkmcnt(0)
	s_add_u32 s0, s0, s2
	s_addc_u32 s1, s1, s3
	s_load_dwordx2 s[2:3], s[0:1], 0x0
	s_waitcnt lgkmcnt(0)
	v_cmp_lt_i64_e64 s[0:1], s[2:3], 0
	s_and_b64 vcc, exec, s[0:1]
	s_cbranch_vccnz .LBB15_91
; %bb.1:
	s_load_dwordx4 s[24:27], s[4:5], 0x50
	s_load_dwordx8 s[16:23], s[4:5], 0x0
	s_waitcnt lgkmcnt(0)
	s_ashr_i32 s27, s26, 31
	s_or_b64 s[0:1], s[2:3], s[26:27]
	s_mov_b32 s0, s7
	s_cmp_lg_u64 s[0:1], 0
	s_cbranch_scc0 .LBB15_92
; %bb.2:
	s_add_u32 s0, s26, s27
	s_mov_b32 s10, s27
	s_mov_b32 s11, s27
	s_addc_u32 s1, s27, s27
	s_xor_b64 s[12:13], s[0:1], s[10:11]
	v_cvt_f32_u32_e32 v1, s12
	v_cvt_f32_u32_e32 v2, s13
	s_sub_u32 s0, 0, s12
	s_subb_u32 s1, 0, s13
	v_madmk_f32 v1, v2, 0x4f800000, v1
	v_rcp_f32_e32 v1, v1
	v_mul_f32_e32 v1, 0x5f7ffffc, v1
	v_mul_f32_e32 v2, 0x2f800000, v1
	v_trunc_f32_e32 v2, v2
	v_madmk_f32 v1, v2, 0xcf800000, v1
	v_cvt_u32_f32_e32 v2, v2
	v_cvt_u32_f32_e32 v1, v1
	v_readfirstlane_b32 s7, v2
	v_readfirstlane_b32 s14, v1
	s_mul_i32 s15, s0, s7
	s_mul_hi_u32 s29, s0, s14
	s_mul_i32 s28, s1, s14
	s_add_i32 s15, s29, s15
	s_add_i32 s15, s15, s28
	s_mul_i32 s30, s0, s14
	s_mul_hi_u32 s28, s14, s15
	s_mul_i32 s29, s14, s15
	s_mul_hi_u32 s14, s14, s30
	s_add_u32 s14, s14, s29
	s_addc_u32 s28, 0, s28
	s_mul_hi_u32 s31, s7, s30
	s_mul_i32 s30, s7, s30
	s_add_u32 s14, s14, s30
	s_mul_hi_u32 s29, s7, s15
	s_addc_u32 s14, s28, s31
	s_addc_u32 s28, s29, 0
	s_mul_i32 s15, s7, s15
	s_add_u32 s14, s14, s15
	s_addc_u32 s15, 0, s28
	v_add_co_u32_e32 v1, vcc, s14, v1
	s_cmp_lg_u64 vcc, 0
	s_addc_u32 s7, s7, s15
	v_readfirstlane_b32 s15, v1
	s_mul_i32 s14, s0, s7
	s_mul_hi_u32 s28, s0, s15
	s_add_i32 s14, s28, s14
	s_mul_i32 s1, s1, s15
	s_add_i32 s14, s14, s1
	s_mul_i32 s0, s0, s15
	s_mul_hi_u32 s28, s7, s0
	s_mul_i32 s29, s7, s0
	s_mul_i32 s31, s15, s14
	s_mul_hi_u32 s0, s15, s0
	s_mul_hi_u32 s30, s15, s14
	s_add_u32 s0, s0, s31
	s_addc_u32 s15, 0, s30
	s_add_u32 s0, s0, s29
	s_mul_hi_u32 s1, s7, s14
	s_addc_u32 s0, s15, s28
	s_addc_u32 s1, s1, 0
	s_mul_i32 s14, s7, s14
	s_add_u32 s0, s0, s14
	s_addc_u32 s1, 0, s1
	v_add_co_u32_e32 v1, vcc, s0, v1
	s_cmp_lg_u64 vcc, 0
	s_addc_u32 s7, s7, s1
	s_ashr_i32 s14, s3, 31
	s_add_u32 s0, s2, s14
	s_mov_b32 s15, s14
	s_addc_u32 s1, s3, s14
	s_xor_b64 s[28:29], s[0:1], s[14:15]
	v_readfirstlane_b32 s30, v1
	s_mul_i32 s1, s28, s7
	s_mul_hi_u32 s31, s28, s30
	s_mul_hi_u32 s0, s28, s7
	s_add_u32 s1, s31, s1
	s_addc_u32 s0, 0, s0
	s_mul_hi_u32 s33, s29, s30
	s_mul_i32 s30, s29, s30
	s_add_u32 s1, s1, s30
	s_mul_hi_u32 s31, s29, s7
	s_addc_u32 s0, s0, s33
	s_addc_u32 s1, s31, 0
	s_mul_i32 s7, s29, s7
	s_add_u32 s7, s0, s7
	s_addc_u32 s30, 0, s1
	s_mul_i32 s0, s12, s30
	s_mul_hi_u32 s1, s12, s7
	s_add_i32 s0, s1, s0
	s_mul_i32 s1, s13, s7
	s_add_i32 s31, s0, s1
	s_mul_i32 s1, s12, s7
	v_mov_b32_e32 v1, s1
	s_sub_i32 s0, s29, s31
	v_sub_co_u32_e32 v1, vcc, s28, v1
	s_cmp_lg_u64 vcc, 0
	s_subb_u32 s28, s0, s13
	v_subrev_co_u32_e64 v2, s[0:1], s12, v1
	s_cmp_lg_u64 s[0:1], 0
	s_subb_u32 s0, s28, 0
	s_cmp_ge_u32 s0, s13
	v_readfirstlane_b32 s28, v2
	s_cselect_b32 s1, -1, 0
	s_cmp_ge_u32 s28, s12
	s_cselect_b32 s28, -1, 0
	s_cmp_eq_u32 s0, s13
	s_cselect_b32 s0, s28, s1
	s_add_u32 s1, s7, 1
	s_addc_u32 s28, s30, 0
	s_add_u32 s33, s7, 2
	s_addc_u32 s34, s30, 0
	s_cmp_lg_u32 s0, 0
	s_cselect_b32 s0, s33, s1
	s_cselect_b32 s1, s34, s28
	s_cmp_lg_u64 vcc, 0
	s_subb_u32 s28, s29, s31
	s_cmp_ge_u32 s28, s13
	v_readfirstlane_b32 s31, v1
	s_cselect_b32 s29, -1, 0
	s_cmp_ge_u32 s31, s12
	s_cselect_b32 s12, -1, 0
	s_cmp_eq_u32 s28, s13
	s_cselect_b32 s12, s12, s29
	s_cmp_lg_u32 s12, 0
	s_cselect_b32 s1, s1, s30
	s_cselect_b32 s0, s0, s7
	s_xor_b64 s[10:11], s[14:15], s[10:11]
	s_xor_b64 s[0:1], s[0:1], s[10:11]
	s_sub_u32 s0, s0, s10
	s_subb_u32 s1, s1, s11
	s_cbranch_execnz .LBB15_4
.LBB15_3:
	v_cvt_f32_u32_e32 v1, s26
	s_sub_i32 s0, 0, s26
	s_mov_b32 s1, 0
	v_rcp_iflag_f32_e32 v1, v1
	v_mul_f32_e32 v1, 0x4f7ffffe, v1
	v_cvt_u32_f32_e32 v1, v1
	v_readfirstlane_b32 s7, v1
	s_mul_i32 s0, s0, s7
	s_mul_hi_u32 s0, s7, s0
	s_add_i32 s7, s7, s0
	s_mul_hi_u32 s0, s2, s7
	s_mul_i32 s8, s0, s26
	s_sub_i32 s8, s2, s8
	s_add_i32 s7, s0, 1
	s_sub_i32 s9, s8, s26
	s_cmp_ge_u32 s8, s26
	s_cselect_b32 s0, s7, s0
	s_cselect_b32 s8, s9, s8
	s_add_i32 s7, s0, 1
	s_cmp_ge_u32 s8, s26
	s_cselect_b32 s0, s7, s0
.LBB15_4:
	s_load_dwordx8 s[8:15], s[4:5], 0x28
	s_mul_i32 s7, s0, s27
	s_mul_hi_u32 s27, s0, s26
	s_add_i32 s7, s27, s7
	s_mul_i32 s27, s1, s26
	s_add_i32 s7, s7, s27
	s_mul_i32 s26, s0, s26
	s_sub_u32 s27, s2, s26
	s_subb_u32 s28, s3, s7
	s_waitcnt lgkmcnt(0)
	s_mul_i32 s2, s6, s15
	s_mul_hi_u32 s3, s6, s14
	s_add_i32 s3, s3, s2
	s_mul_i32 s2, s6, s14
	s_load_dwordx2 s[14:15], s[4:5], 0x48
	s_load_dword s36, s[4:5], 0x7c
	s_lshl_b64 s[2:3], s[2:3], 1
	s_add_u32 s31, s16, s2
	s_addc_u32 s33, s17, s3
	s_waitcnt lgkmcnt(0)
	s_mul_i32 s4, s6, s15
	s_mul_hi_u32 s5, s6, s14
	s_add_i32 s5, s5, s4
	s_mul_i32 s4, s6, s14
	s_lshl_b64 s[14:15], s[4:5], 1
	s_add_u32 s26, s18, s14
	s_mul_i32 s4, s0, s9
	s_mul_hi_u32 s5, s0, s8
	s_addc_u32 s29, s19, s15
	s_add_i32 s4, s5, s4
	s_mul_i32 s1, s1, s8
	s_add_i32 s1, s4, s1
	s_mul_i32 s0, s0, s8
	s_lshl_b64 s[6:7], s[0:1], 1
	s_add_u32 s4, s20, s6
	s_mul_i32 s0, s27, s11
	s_mul_hi_u32 s1, s27, s10
	s_addc_u32 s5, s21, s7
	s_add_i32 s0, s1, s0
	s_mul_i32 s28, s28, s10
	s_add_i32 s1, s0, s28
	s_mul_i32 s0, s27, s10
	s_lshl_b64 s[8:9], s[0:1], 1
	s_add_u32 s34, s4, s8
	s_addc_u32 s35, s5, s9
	s_add_u32 s0, s22, s6
	s_addc_u32 s1, s23, s7
	;; [unrolled: 2-line block ×3, first 2 shown]
	s_ashr_i32 s1, s25, 31
	s_mov_b32 s0, s25
	s_and_b32 s28, s36, 0xffff
	s_cmp_lg_u64 s[0:1], s[12:13]
	s_mov_b64 s[0:1], -1
	s_cbranch_scc0 .LBB15_49
; %bb.5:
	v_lshrrev_b32_e32 v19, 5, v0
	v_cmp_gt_i32_e32 vcc, s24, v19
	s_and_saveexec_b64 s[4:5], vcc
	s_cbranch_execz .LBB15_48
; %bb.6:
	s_lshr_b32 s36, s28, 5
	s_and_b32 s0, s25, 7
	v_mad_u64_u32 v[2:3], s[38:39], s12, v19, 0
	s_cmp_eq_u32 s0, 0
	v_mov_b32_e32 v4, v3
	s_cselect_b64 s[10:11], -1, 0
	s_ashr_i32 s37, s25, 3
	v_mad_u64_u32 v[4:5], s[38:39], s13, v19, v[4:5]
	v_mov_b32_e32 v3, v4
	s_add_u32 s6, s8, s6
	v_lshlrev_b64 v[2:3], 1, v[2:3]
	s_addc_u32 s7, s9, s7
	v_and_b32_e32 v8, 31, v0
	v_mov_b32_e32 v1, s7
	v_add_co_u32_e32 v2, vcc, s6, v2
	v_addc_co_u32_e32 v3, vcc, v1, v3, vcc
	v_lshlrev_b32_e32 v4, 4, v8
	v_add_co_u32_e32 v1, vcc, v2, v4
	v_addc_co_u32_e32 v5, vcc, 0, v3, vcc
	s_mul_i32 s6, s13, s36
	s_mul_hi_u32 s7, s12, s36
	v_add_co_u32_e32 v6, vcc, 8, v1
	s_add_i32 s7, s7, s6
	s_mul_i32 s6, s12, s36
	v_addc_co_u32_e32 v5, vcc, 0, v5, vcc
	s_lshl_b64 s[6:7], s[6:7], 1
	v_mov_b32_e32 v7, s21
	v_add_co_u32_e32 v12, vcc, s20, v6
	s_add_u32 s38, s16, s2
	v_addc_co_u32_e32 v1, vcc, v7, v5, vcc
	s_addc_u32 s39, s17, s3
	v_mov_b32_e32 v9, s39
	v_add_co_u32_e32 v10, vcc, s38, v4
	v_addc_co_u32_e32 v9, vcc, 0, v9, vcc
	v_add_co_u32_e32 v31, vcc, 8, v10
	v_addc_co_u32_e32 v32, vcc, 0, v9, vcc
	;; [unrolled: 2-line block ×3, first 2 shown]
	v_mov_b32_e32 v7, s23
	v_add_co_u32_e32 v18, vcc, s22, v6
	s_add_u32 s23, s18, s14
	v_addc_co_u32_e32 v13, vcc, v7, v5, vcc
	s_addc_u32 s41, s19, s15
	v_mov_b32_e32 v5, s41
	v_add_co_u32_e32 v4, vcc, s23, v4
	v_addc_co_u32_e32 v5, vcc, 0, v5, vcc
	v_add_co_u32_e32 v33, vcc, 8, v4
	v_addc_co_u32_e32 v34, vcc, 0, v5, vcc
	v_add_co_u32_e32 v20, vcc, s22, v2
	v_cmp_gt_i32_e64 s[0:1], s37, v8
	v_mov_b32_e32 v11, 0
	v_not_b32_e32 v21, v8
	v_or_b32_e32 v30, 32, v8
	v_mul_lo_u32 v14, s25, v19
	s_mul_i32 s40, s25, s36
	v_addc_co_u32_e32 v17, vcc, v7, v3, vcc
	s_mov_b64 s[8:9], 0
	v_mov_b32_e32 v35, s33
	s_xor_b64 s[10:11], s[10:11], -1
	s_movk_i32 s22, 0x5f
	s_branch .LBB15_9
.LBB15_7:                               ;   in Loop: Header=BB15_9 Depth=1
	s_or_b64 exec, exec, s[14:15]
.LBB15_8:                               ;   in Loop: Header=BB15_9 Depth=1
	s_or_b64 exec, exec, s[2:3]
	v_mov_b32_e32 v2, s7
	v_add_co_u32_e32 v12, vcc, s6, v12
	v_addc_co_u32_e32 v1, vcc, v1, v2, vcc
	v_add_co_u32_e32 v16, vcc, s6, v16
	v_addc_co_u32_e32 v9, vcc, v9, v2, vcc
	v_add_co_u32_e32 v18, vcc, s6, v18
	v_add_u32_e32 v19, s36, v19
	v_addc_co_u32_e32 v13, vcc, v13, v2, vcc
	v_cmp_le_i32_e32 vcc, s24, v19
	s_or_b64 s[8:9], vcc, s[8:9]
	v_add_co_u32_e32 v20, vcc, s6, v20
	v_add_u32_e32 v14, s40, v14
	v_addc_co_u32_e32 v17, vcc, v17, v2, vcc
	s_andn2_b64 exec, exec, s[8:9]
	s_cbranch_execz .LBB15_48
.LBB15_9:                               ; =>This Loop Header: Depth=1
                                        ;     Child Loop BB15_14 Depth 2
                                        ;     Child Loop BB15_18 Depth 2
	;; [unrolled: 1-line block ×8, first 2 shown]
	v_mul_lo_u32 v2, v19, s25
	v_ashrrev_i32_e32 v3, 31, v2
	v_lshlrev_b64 v[26:27], 1, v[2:3]
	v_mad_u64_u32 v[2:3], s[2:3], v19, s12, 0
	v_add_co_u32_e32 v6, vcc, s31, v26
	v_mov_b32_e32 v4, v3
	v_addc_co_u32_e32 v7, vcc, v35, v27, vcc
	v_mad_u64_u32 v[4:5], s[2:3], v19, s13, v[4:5]
	v_and_b32_e32 v10, 15, v6
	v_ashrrev_i32_e32 v15, 31, v14
	v_mov_b32_e32 v3, v4
	v_cmp_ne_u64_e32 vcc, 0, v[10:11]
	v_lshlrev_b64 v[22:23], 1, v[14:15]
	s_or_b64 s[2:3], s[10:11], vcc
	v_lshlrev_b64 v[24:25], 1, v[2:3]
	s_and_saveexec_b64 s[14:15], s[2:3]
	s_xor_b64 s[14:15], exec, s[14:15]
	s_cbranch_execz .LBB15_24
; %bb.10:                               ;   in Loop: Header=BB15_9 Depth=1
	v_mov_b32_e32 v2, s35
	v_add_co_u32_e32 v15, vcc, s34, v24
	v_addc_co_u32_e32 v36, vcc, v2, v25, vcc
	v_sub_u32_e32 v2, 0, v6
	v_bfe_u32 v2, v2, 1, 3
	v_min_i32_e32 v2, s25, v2
	v_cmp_gt_i32_e32 vcc, v2, v8
	s_and_saveexec_b64 s[2:3], vcc
	s_cbranch_execz .LBB15_12
; %bb.11:                               ;   in Loop: Header=BB15_9 Depth=1
	v_lshlrev_b32_e32 v3, 1, v8
	v_add_co_u32_e32 v4, vcc, v6, v3
	v_addc_co_u32_e32 v5, vcc, 0, v7, vcc
	global_load_ushort v10, v[4:5], off
	v_add_co_u32_e32 v4, vcc, v15, v3
	v_addc_co_u32_e32 v5, vcc, 0, v36, vcc
	s_waitcnt vmcnt(0)
	global_store_short v[4:5], v10, off
.LBB15_12:                              ;   in Loop: Header=BB15_9 Depth=1
	s_or_b64 exec, exec, s[2:3]
	v_sub_u32_e32 v10, s25, v2
	v_ashrrev_i32_e32 v4, 31, v10
	v_lshrrev_b32_e32 v4, 29, v4
	v_add_u32_e32 v4, v10, v4
	v_ashrrev_i32_e32 v3, 31, v2
	v_ashrrev_i32_e32 v37, 3, v4
	v_cmp_gt_i32_e32 vcc, v37, v8
	v_lshlrev_b64 v[28:29], 1, v[2:3]
	s_and_saveexec_b64 s[2:3], vcc
	s_cbranch_execz .LBB15_15
; %bb.13:                               ;   in Loop: Header=BB15_9 Depth=1
	v_add_co_u32_e32 v2, vcc, v12, v28
	v_addc_co_u32_e32 v3, vcc, v1, v29, vcc
	v_add_co_u32_e32 v4, vcc, v28, v22
	v_addc_co_u32_e32 v5, vcc, v29, v23, vcc
	;; [unrolled: 2-line block ×3, first 2 shown]
	s_mov_b64 s[16:17], 0
	v_mov_b32_e32 v38, v8
.LBB15_14:                              ;   Parent Loop BB15_9 Depth=1
                                        ; =>  This Inner Loop Header: Depth=2
	global_load_dwordx4 v[40:43], v[4:5], off offset:-8
	v_add_u32_e32 v38, 32, v38
	v_cmp_ge_i32_e32 vcc, v38, v37
	s_or_b64 s[16:17], vcc, s[16:17]
	s_waitcnt vmcnt(0)
	global_store_dwordx4 v[2:3], v[40:43], off offset:-8
	v_add_co_u32_e32 v2, vcc, 0x200, v2
	v_addc_co_u32_e32 v3, vcc, 0, v3, vcc
	v_add_co_u32_e32 v4, vcc, 0x200, v4
	v_addc_co_u32_e32 v5, vcc, 0, v5, vcc
	s_andn2_b64 exec, exec, s[16:17]
	s_cbranch_execnz .LBB15_14
.LBB15_15:                              ;   in Loop: Header=BB15_9 Depth=1
	s_or_b64 exec, exec, s[2:3]
	v_lshlrev_b32_e32 v3, 3, v37
	v_add_u32_e32 v2, v3, v8
	v_cmp_lt_i32_e32 vcc, v2, v10
	s_and_saveexec_b64 s[16:17], vcc
	s_cbranch_execz .LBB15_23
; %bb.16:                               ;   in Loop: Header=BB15_9 Depth=1
	v_add_u32_e32 v4, v30, v3
	v_max_i32_e32 v4, v4, v10
	v_add_u32_e32 v4, v4, v21
	v_sub_u32_e32 v3, v4, v3
	v_cmp_lt_u32_e32 vcc, s22, v3
	s_mov_b64 s[2:3], -1
	s_and_saveexec_b64 s[18:19], vcc
	s_cbranch_execz .LBB15_20
; %bb.17:                               ;   in Loop: Header=BB15_9 Depth=1
	v_lshrrev_b32_e32 v3, 5, v3
	v_add_co_u32_e32 v38, vcc, v6, v28
	v_add_u32_e32 v37, 1, v3
	v_addc_co_u32_e32 v39, vcc, v7, v29, vcc
	v_add_u32_e32 v5, 0x60, v2
	v_add_u32_e32 v4, 64, v2
	v_add_co_u32_e32 v40, vcc, v15, v28
	v_and_b32_e32 v15, 0xffffffc, v37
	v_add_u32_e32 v3, 32, v2
	v_pk_mov_b32 v[6:7], v[4:5], v[4:5] op_sel:[0,1]
	v_addc_co_u32_e32 v36, vcc, v36, v29, vcc
	s_mov_b64 s[20:21], 0
	v_mov_b32_e32 v41, v15
	v_pk_mov_b32 v[4:5], v[2:3], v[2:3] op_sel:[0,1]
.LBB15_18:                              ;   Parent Loop BB15_9 Depth=1
                                        ; =>  This Inner Loop Header: Depth=2
	v_ashrrev_i32_e32 v49, 31, v4
	v_mov_b32_e32 v48, v4
	v_lshlrev_b64 v[48:49], 1, v[48:49]
	v_ashrrev_i32_e32 v47, 31, v5
	v_mov_b32_e32 v46, v5
	v_add_co_u32_e32 v50, vcc, v38, v48
	v_lshlrev_b64 v[46:47], 1, v[46:47]
	v_addc_co_u32_e32 v51, vcc, v39, v49, vcc
	v_ashrrev_i32_e32 v45, 31, v6
	v_mov_b32_e32 v44, v6
	v_add_co_u32_e32 v52, vcc, v38, v46
	v_lshlrev_b64 v[44:45], 1, v[44:45]
	v_addc_co_u32_e32 v53, vcc, v39, v47, vcc
	v_ashrrev_i32_e32 v43, 31, v7
	v_mov_b32_e32 v42, v7
	v_add_co_u32_e32 v54, vcc, v38, v44
	v_lshlrev_b64 v[42:43], 1, v[42:43]
	v_addc_co_u32_e32 v55, vcc, v39, v45, vcc
	v_add_co_u32_e32 v56, vcc, v38, v42
	v_addc_co_u32_e32 v57, vcc, v39, v43, vcc
	global_load_ushort v3, v[50:51], off
	global_load_ushort v58, v[52:53], off
	;; [unrolled: 1-line block ×4, first 2 shown]
	v_add_co_u32_e64 v48, s[2:3], v40, v48
	v_addc_co_u32_e64 v49, s[2:3], v36, v49, s[2:3]
	v_add_co_u32_e64 v46, s[2:3], v40, v46
	v_addc_co_u32_e64 v47, s[2:3], v36, v47, s[2:3]
	v_add_u32_e32 v41, -4, v41
	v_add_co_u32_e64 v44, s[2:3], v40, v44
	v_cmp_eq_u32_e32 vcc, 0, v41
	v_addc_co_u32_e64 v45, s[2:3], v36, v45, s[2:3]
	v_add_u32_e32 v7, 0x80, v7
	v_add_u32_e32 v6, 0x80, v6
	v_add_u32_e32 v5, 0x80, v5
	v_add_u32_e32 v4, 0x80, v4
	v_add_co_u32_e64 v42, s[2:3], v40, v42
	s_or_b64 s[20:21], vcc, s[20:21]
	v_addc_co_u32_e64 v43, s[2:3], v36, v43, s[2:3]
	s_waitcnt vmcnt(3)
	global_store_short v[48:49], v3, off
	s_waitcnt vmcnt(3)
	global_store_short v[46:47], v58, off
	;; [unrolled: 2-line block ×4, first 2 shown]
	s_andn2_b64 exec, exec, s[20:21]
	s_cbranch_execnz .LBB15_18
; %bb.19:                               ;   in Loop: Header=BB15_9 Depth=1
	s_or_b64 exec, exec, s[20:21]
	v_cmp_ne_u32_e32 vcc, v37, v15
	v_lshl_add_u32 v2, v15, 5, v2
	s_orn2_b64 s[2:3], vcc, exec
.LBB15_20:                              ;   in Loop: Header=BB15_9 Depth=1
	s_or_b64 exec, exec, s[18:19]
	s_and_b64 exec, exec, s[2:3]
	s_cbranch_execz .LBB15_23
; %bb.21:                               ;   in Loop: Header=BB15_9 Depth=1
	v_ashrrev_i32_e32 v3, 31, v2
	v_lshlrev_b64 v[4:5], 1, v[2:3]
	v_add_co_u32_e32 v3, vcc, v28, v4
	v_addc_co_u32_e32 v7, vcc, v29, v5, vcc
	v_add_co_u32_e32 v4, vcc, v3, v22
	v_addc_co_u32_e32 v5, vcc, v7, v23, vcc
	v_mov_b32_e32 v6, s39
	v_add_co_u32_e32 v4, vcc, s38, v4
	v_addc_co_u32_e32 v5, vcc, v6, v5, vcc
	v_add_co_u32_e32 v6, vcc, v16, v3
	v_addc_co_u32_e32 v7, vcc, v9, v7, vcc
	s_mov_b64 s[2:3], 0
.LBB15_22:                              ;   Parent Loop BB15_9 Depth=1
                                        ; =>  This Inner Loop Header: Depth=2
	global_load_ushort v3, v[4:5], off
	v_add_co_u32_e32 v4, vcc, 64, v4
	v_add_u32_e32 v2, 32, v2
	v_addc_co_u32_e32 v5, vcc, 0, v5, vcc
	v_cmp_ge_i32_e32 vcc, v2, v10
	s_or_b64 s[2:3], vcc, s[2:3]
	s_waitcnt vmcnt(0)
	global_store_short v[6:7], v3, off
	v_add_co_u32_e32 v6, vcc, 64, v6
	v_addc_co_u32_e32 v7, vcc, 0, v7, vcc
	s_andn2_b64 exec, exec, s[2:3]
	s_cbranch_execnz .LBB15_22
.LBB15_23:                              ;   in Loop: Header=BB15_9 Depth=1
	s_or_b64 exec, exec, s[16:17]
.LBB15_24:                              ;   in Loop: Header=BB15_9 Depth=1
	s_andn2_saveexec_b64 s[2:3], s[14:15]
	s_cbranch_execz .LBB15_29
; %bb.25:                               ;   in Loop: Header=BB15_9 Depth=1
	s_and_saveexec_b64 s[14:15], s[0:1]
	s_cbranch_execz .LBB15_28
; %bb.26:                               ;   in Loop: Header=BB15_9 Depth=1
	v_add_co_u32_e32 v2, vcc, v31, v22
	v_addc_co_u32_e32 v3, vcc, v32, v23, vcc
	s_mov_b64 s[16:17], 0
	s_mov_b64 s[18:19], 0
	v_mov_b32_e32 v4, v8
.LBB15_27:                              ;   Parent Loop BB15_9 Depth=1
                                        ; =>  This Inner Loop Header: Depth=2
	v_mov_b32_e32 v5, s19
	v_add_co_u32_e32 v6, vcc, s18, v2
	v_addc_co_u32_e32 v7, vcc, v3, v5, vcc
	global_load_dwordx4 v[36:39], v[6:7], off offset:-8
	v_add_co_u32_e32 v6, vcc, s18, v12
	v_add_u32_e32 v4, 32, v4
	s_add_u32 s18, s18, 0x200
	v_addc_co_u32_e32 v7, vcc, v1, v5, vcc
	s_addc_u32 s19, s19, 0
	v_cmp_le_i32_e32 vcc, s37, v4
	s_or_b64 s[16:17], vcc, s[16:17]
	s_waitcnt vmcnt(0)
	global_store_dwordx4 v[6:7], v[36:39], off offset:-8
	s_andn2_b64 exec, exec, s[16:17]
	s_cbranch_execnz .LBB15_27
.LBB15_28:                              ;   in Loop: Header=BB15_9 Depth=1
	s_or_b64 exec, exec, s[14:15]
.LBB15_29:                              ;   in Loop: Header=BB15_9 Depth=1
	s_or_b64 exec, exec, s[2:3]
	v_mov_b32_e32 v2, s29
	v_add_co_u32_e32 v6, vcc, s26, v26
	v_addc_co_u32_e32 v7, vcc, v2, v27, vcc
	v_and_b32_e32 v10, 15, v6
	v_cmp_ne_u64_e32 vcc, 0, v[10:11]
	s_or_b64 s[2:3], s[10:11], vcc
	s_and_saveexec_b64 s[14:15], s[2:3]
	s_xor_b64 s[14:15], exec, s[14:15]
	s_cbranch_execz .LBB15_44
; %bb.30:                               ;   in Loop: Header=BB15_9 Depth=1
	v_mov_b32_e32 v2, s30
	v_add_co_u32_e32 v15, vcc, s27, v24
	v_addc_co_u32_e32 v26, vcc, v2, v25, vcc
	v_sub_u32_e32 v2, 0, v6
	v_bfe_u32 v2, v2, 1, 3
	v_min_i32_e32 v2, s25, v2
	v_cmp_gt_i32_e32 vcc, v2, v8
	s_and_saveexec_b64 s[2:3], vcc
	s_cbranch_execz .LBB15_32
; %bb.31:                               ;   in Loop: Header=BB15_9 Depth=1
	v_lshlrev_b32_e32 v3, 1, v8
	v_add_co_u32_e32 v4, vcc, v6, v3
	v_addc_co_u32_e32 v5, vcc, 0, v7, vcc
	global_load_ushort v10, v[4:5], off
	v_add_co_u32_e32 v4, vcc, v15, v3
	v_addc_co_u32_e32 v5, vcc, 0, v26, vcc
	s_waitcnt vmcnt(0)
	global_store_short v[4:5], v10, off
.LBB15_32:                              ;   in Loop: Header=BB15_9 Depth=1
	s_or_b64 exec, exec, s[2:3]
	v_sub_u32_e32 v10, s25, v2
	v_ashrrev_i32_e32 v4, 31, v10
	v_lshrrev_b32_e32 v4, 29, v4
	v_add_u32_e32 v4, v10, v4
	v_ashrrev_i32_e32 v3, 31, v2
	v_ashrrev_i32_e32 v27, 3, v4
	v_cmp_gt_i32_e32 vcc, v27, v8
	v_lshlrev_b64 v[24:25], 1, v[2:3]
	s_and_saveexec_b64 s[2:3], vcc
	s_cbranch_execz .LBB15_35
; %bb.33:                               ;   in Loop: Header=BB15_9 Depth=1
	v_add_co_u32_e32 v2, vcc, v18, v24
	v_addc_co_u32_e32 v3, vcc, v13, v25, vcc
	v_add_co_u32_e32 v4, vcc, v24, v22
	v_addc_co_u32_e32 v5, vcc, v25, v23, vcc
	;; [unrolled: 2-line block ×3, first 2 shown]
	s_mov_b64 s[16:17], 0
	v_mov_b32_e32 v28, v8
.LBB15_34:                              ;   Parent Loop BB15_9 Depth=1
                                        ; =>  This Inner Loop Header: Depth=2
	global_load_dwordx4 v[36:39], v[4:5], off offset:-8
	v_add_u32_e32 v28, 32, v28
	v_cmp_ge_i32_e32 vcc, v28, v27
	s_or_b64 s[16:17], vcc, s[16:17]
	s_waitcnt vmcnt(0)
	global_store_dwordx4 v[2:3], v[36:39], off offset:-8
	v_add_co_u32_e32 v2, vcc, 0x200, v2
	v_addc_co_u32_e32 v3, vcc, 0, v3, vcc
	v_add_co_u32_e32 v4, vcc, 0x200, v4
	v_addc_co_u32_e32 v5, vcc, 0, v5, vcc
	s_andn2_b64 exec, exec, s[16:17]
	s_cbranch_execnz .LBB15_34
.LBB15_35:                              ;   in Loop: Header=BB15_9 Depth=1
	s_or_b64 exec, exec, s[2:3]
	v_lshlrev_b32_e32 v3, 3, v27
	v_add_u32_e32 v2, v3, v8
	v_cmp_lt_i32_e32 vcc, v2, v10
	s_and_saveexec_b64 s[16:17], vcc
	s_cbranch_execz .LBB15_43
; %bb.36:                               ;   in Loop: Header=BB15_9 Depth=1
	v_add_u32_e32 v4, v30, v3
	v_max_i32_e32 v4, v4, v10
	v_add_u32_e32 v4, v4, v21
	v_sub_u32_e32 v3, v4, v3
	v_cmp_lt_u32_e32 vcc, s22, v3
	s_mov_b64 s[2:3], -1
	s_and_saveexec_b64 s[18:19], vcc
	s_cbranch_execz .LBB15_40
; %bb.37:                               ;   in Loop: Header=BB15_9 Depth=1
	v_lshrrev_b32_e32 v3, 5, v3
	v_add_co_u32_e32 v28, vcc, v6, v24
	v_add_u32_e32 v27, 1, v3
	v_addc_co_u32_e32 v29, vcc, v7, v25, vcc
	v_add_u32_e32 v5, 0x60, v2
	v_add_u32_e32 v4, 64, v2
	v_add_co_u32_e32 v36, vcc, v15, v24
	v_and_b32_e32 v15, 0xffffffc, v27
	v_add_u32_e32 v3, 32, v2
	v_pk_mov_b32 v[6:7], v[4:5], v[4:5] op_sel:[0,1]
	v_addc_co_u32_e32 v26, vcc, v26, v25, vcc
	s_mov_b64 s[20:21], 0
	v_mov_b32_e32 v37, v15
	v_pk_mov_b32 v[4:5], v[2:3], v[2:3] op_sel:[0,1]
.LBB15_38:                              ;   Parent Loop BB15_9 Depth=1
                                        ; =>  This Inner Loop Header: Depth=2
	v_ashrrev_i32_e32 v45, 31, v4
	v_mov_b32_e32 v44, v4
	v_lshlrev_b64 v[44:45], 1, v[44:45]
	v_ashrrev_i32_e32 v43, 31, v5
	v_mov_b32_e32 v42, v5
	v_add_co_u32_e32 v46, vcc, v28, v44
	v_lshlrev_b64 v[42:43], 1, v[42:43]
	v_addc_co_u32_e32 v47, vcc, v29, v45, vcc
	v_ashrrev_i32_e32 v41, 31, v6
	v_mov_b32_e32 v40, v6
	v_add_co_u32_e32 v48, vcc, v28, v42
	v_lshlrev_b64 v[40:41], 1, v[40:41]
	v_addc_co_u32_e32 v49, vcc, v29, v43, vcc
	;; [unrolled: 5-line block ×3, first 2 shown]
	v_add_co_u32_e32 v52, vcc, v28, v38
	v_addc_co_u32_e32 v53, vcc, v29, v39, vcc
	global_load_ushort v3, v[46:47], off
	global_load_ushort v54, v[48:49], off
	;; [unrolled: 1-line block ×4, first 2 shown]
	v_add_co_u32_e64 v44, s[2:3], v36, v44
	v_addc_co_u32_e64 v45, s[2:3], v26, v45, s[2:3]
	v_add_co_u32_e64 v42, s[2:3], v36, v42
	v_addc_co_u32_e64 v43, s[2:3], v26, v43, s[2:3]
	v_add_u32_e32 v37, -4, v37
	v_add_co_u32_e64 v40, s[2:3], v36, v40
	v_cmp_eq_u32_e32 vcc, 0, v37
	v_addc_co_u32_e64 v41, s[2:3], v26, v41, s[2:3]
	v_add_u32_e32 v7, 0x80, v7
	v_add_u32_e32 v6, 0x80, v6
	v_add_u32_e32 v5, 0x80, v5
	v_add_u32_e32 v4, 0x80, v4
	v_add_co_u32_e64 v38, s[2:3], v36, v38
	s_or_b64 s[20:21], vcc, s[20:21]
	v_addc_co_u32_e64 v39, s[2:3], v26, v39, s[2:3]
	s_waitcnt vmcnt(3)
	global_store_short v[44:45], v3, off
	s_waitcnt vmcnt(3)
	global_store_short v[42:43], v54, off
	s_waitcnt vmcnt(3)
	global_store_short v[40:41], v55, off
	s_waitcnt vmcnt(3)
	global_store_short v[38:39], v56, off
	s_andn2_b64 exec, exec, s[20:21]
	s_cbranch_execnz .LBB15_38
; %bb.39:                               ;   in Loop: Header=BB15_9 Depth=1
	s_or_b64 exec, exec, s[20:21]
	v_cmp_ne_u32_e32 vcc, v27, v15
	v_lshl_add_u32 v2, v15, 5, v2
	s_orn2_b64 s[2:3], vcc, exec
.LBB15_40:                              ;   in Loop: Header=BB15_9 Depth=1
	s_or_b64 exec, exec, s[18:19]
	s_and_b64 exec, exec, s[2:3]
	s_cbranch_execz .LBB15_43
; %bb.41:                               ;   in Loop: Header=BB15_9 Depth=1
	v_ashrrev_i32_e32 v3, 31, v2
	v_lshlrev_b64 v[4:5], 1, v[2:3]
	v_add_co_u32_e32 v3, vcc, v24, v4
	v_addc_co_u32_e32 v7, vcc, v25, v5, vcc
	v_add_co_u32_e32 v4, vcc, v3, v22
	v_addc_co_u32_e32 v5, vcc, v7, v23, vcc
	v_mov_b32_e32 v6, s41
	v_add_co_u32_e32 v4, vcc, s23, v4
	v_addc_co_u32_e32 v5, vcc, v6, v5, vcc
	v_add_co_u32_e32 v6, vcc, v20, v3
	v_addc_co_u32_e32 v7, vcc, v17, v7, vcc
	s_mov_b64 s[2:3], 0
.LBB15_42:                              ;   Parent Loop BB15_9 Depth=1
                                        ; =>  This Inner Loop Header: Depth=2
	global_load_ushort v3, v[4:5], off
	v_add_co_u32_e32 v4, vcc, 64, v4
	v_add_u32_e32 v2, 32, v2
	v_addc_co_u32_e32 v5, vcc, 0, v5, vcc
	v_cmp_ge_i32_e32 vcc, v2, v10
	s_or_b64 s[2:3], vcc, s[2:3]
	s_waitcnt vmcnt(0)
	global_store_short v[6:7], v3, off
	v_add_co_u32_e32 v6, vcc, 64, v6
	v_addc_co_u32_e32 v7, vcc, 0, v7, vcc
	s_andn2_b64 exec, exec, s[2:3]
	s_cbranch_execnz .LBB15_42
.LBB15_43:                              ;   in Loop: Header=BB15_9 Depth=1
	s_or_b64 exec, exec, s[16:17]
                                        ; implicit-def: $vgpr22_vgpr23
.LBB15_44:                              ;   in Loop: Header=BB15_9 Depth=1
	s_andn2_saveexec_b64 s[2:3], s[14:15]
	s_cbranch_execz .LBB15_8
; %bb.45:                               ;   in Loop: Header=BB15_9 Depth=1
	s_and_saveexec_b64 s[14:15], s[0:1]
	s_cbranch_execz .LBB15_7
; %bb.46:                               ;   in Loop: Header=BB15_9 Depth=1
	v_add_co_u32_e32 v2, vcc, v33, v22
	v_addc_co_u32_e32 v3, vcc, v34, v23, vcc
	s_mov_b64 s[16:17], 0
	s_mov_b64 s[18:19], 0
	v_mov_b32_e32 v4, v8
.LBB15_47:                              ;   Parent Loop BB15_9 Depth=1
                                        ; =>  This Inner Loop Header: Depth=2
	v_mov_b32_e32 v5, s19
	v_add_co_u32_e32 v6, vcc, s18, v2
	v_addc_co_u32_e32 v7, vcc, v3, v5, vcc
	global_load_dwordx4 v[22:25], v[6:7], off offset:-8
	v_add_co_u32_e32 v6, vcc, s18, v18
	v_add_u32_e32 v4, 32, v4
	s_add_u32 s18, s18, 0x200
	v_addc_co_u32_e32 v7, vcc, v13, v5, vcc
	s_addc_u32 s19, s19, 0
	v_cmp_le_i32_e32 vcc, s37, v4
	s_or_b64 s[16:17], vcc, s[16:17]
	s_waitcnt vmcnt(0)
	global_store_dwordx4 v[6:7], v[22:25], off offset:-8
	s_andn2_b64 exec, exec, s[16:17]
	s_cbranch_execnz .LBB15_47
	s_branch .LBB15_7
.LBB15_48:
	s_or_b64 exec, exec, s[4:5]
	s_mov_b64 s[0:1], 0
.LBB15_49:
	s_andn2_b64 vcc, exec, s[0:1]
	s_cbranch_vccnz .LBB15_91
; %bb.50:
	s_and_b32 s0, s31, 15
	s_mov_b32 s1, 0
	s_mul_i32 s12, s25, s24
	s_cmp_lg_u64 s[0:1], 0
	s_cselect_b64 s[0:1], -1, 0
	s_and_b32 s4, s12, 7
	s_cmp_eq_u32 s4, 0
	s_cselect_b64 s[2:3], -1, 0
	s_cmp_lg_u32 s4, 0
	s_cselect_b64 s[4:5], -1, 0
	s_or_b64 s[4:5], s[0:1], s[4:5]
	s_mov_b64 s[0:1], -1
	s_and_b64 vcc, exec, s[4:5]
	s_cbranch_vccz .LBB15_66
; %bb.51:
	s_sub_i32 s0, 0, s31
	s_bfe_u32 s0, s0, 0x30001
	s_min_i32 s4, s0, s12
	v_cmp_gt_i32_e32 vcc, s4, v0
	s_and_saveexec_b64 s[0:1], vcc
	s_cbranch_execz .LBB15_54
; %bb.52:
	s_mov_b32 s8, 0
	v_lshlrev_b32_e32 v2, 1, v0
	v_mov_b32_e32 v1, 0
	s_lshl_b32 s5, s28, 1
	s_mov_b64 s[6:7], 0
	v_mov_b32_e32 v3, s35
	v_mov_b32_e32 v4, s33
	;; [unrolled: 1-line block ×4, first 2 shown]
.LBB15_53:                              ; =>This Inner Loop Header: Depth=1
	v_add_co_u32_e32 v8, vcc, s31, v2
	v_addc_co_u32_e32 v9, vcc, v4, v1, vcc
	global_load_ushort v7, v[8:9], off
	v_add_co_u32_e32 v8, vcc, s34, v2
	v_addc_co_u32_e32 v9, vcc, v3, v1, vcc
	v_add_co_u32_e32 v2, vcc, s5, v2
	v_add_u32_e32 v6, s28, v6
	v_addc_co_u32_e32 v1, vcc, v1, v5, vcc
	v_cmp_le_i32_e32 vcc, s4, v6
	s_or_b64 s[6:7], vcc, s[6:7]
	s_waitcnt vmcnt(0)
	global_store_short v[8:9], v7, off
	s_andn2_b64 exec, exec, s[6:7]
	s_cbranch_execnz .LBB15_53
.LBB15_54:
	s_or_b64 exec, exec, s[0:1]
	s_sub_i32 s13, s12, s4
	s_ashr_i32 s0, s13, 31
	s_lshr_b32 s0, s0, 29
	s_add_i32 s0, s13, s0
	s_ashr_i32 s8, s0, 3
	s_ashr_i32 s5, s4, 31
	v_cmp_gt_i32_e32 vcc, s8, v0
	s_and_saveexec_b64 s[0:1], vcc
	s_cbranch_execz .LBB15_57
; %bb.55:
	v_lshlrev_b32_e32 v1, 4, v0
	s_lshl_b64 s[6:7], s[4:5], 1
	v_mov_b32_e32 v2, s7
	v_add_co_u32_e32 v1, vcc, s6, v1
	v_addc_co_u32_e32 v3, vcc, 0, v2, vcc
	s_mov_b32 s10, 0
	v_add_co_u32_e32 v2, vcc, 8, v1
	v_addc_co_u32_e32 v1, vcc, 0, v3, vcc
	s_lshl_b32 s9, s28, 4
	s_mov_b64 s[6:7], 0
	v_mov_b32_e32 v3, s33
	v_mov_b32_e32 v4, s35
	;; [unrolled: 1-line block ×4, first 2 shown]
.LBB15_56:                              ; =>This Inner Loop Header: Depth=1
	v_add_co_u32_e32 v8, vcc, s31, v2
	v_addc_co_u32_e32 v9, vcc, v3, v1, vcc
	global_load_dwordx4 v[8:11], v[8:9], off offset:-8
	v_add_co_u32_e32 v12, vcc, s34, v2
	v_addc_co_u32_e32 v13, vcc, v4, v1, vcc
	v_add_co_u32_e32 v2, vcc, s9, v2
	v_add_u32_e32 v6, s28, v6
	v_addc_co_u32_e32 v1, vcc, v1, v5, vcc
	v_cmp_le_i32_e32 vcc, s8, v6
	s_or_b64 s[6:7], vcc, s[6:7]
	s_waitcnt vmcnt(0)
	global_store_dwordx4 v[12:13], v[8:11], off offset:-8
	s_andn2_b64 exec, exec, s[6:7]
	s_cbranch_execnz .LBB15_56
.LBB15_57:
	s_or_b64 exec, exec, s[0:1]
	v_lshl_add_u32 v2, s8, 3, v0
	v_cmp_gt_i32_e32 vcc, s13, v2
	s_and_saveexec_b64 s[6:7], vcc
	s_cbranch_execz .LBB15_65
; %bb.58:
	v_cvt_f32_u32_e32 v1, s28
	v_add_u32_e32 v3, s28, v2
	v_mov_b32_e32 v4, s28
	s_sub_i32 s8, 0, s28
	v_rcp_iflag_f32_e32 v1, v1
	v_cmp_gt_i32_e32 vcc, s13, v3
	v_max_i32_e32 v5, s13, v3
	v_addc_co_u32_e64 v3, s[0:1], v2, v4, vcc
	v_mul_f32_e32 v1, 0x4f7ffffe, v1
	v_cvt_u32_f32_e32 v1, v1
	v_sub_u32_e32 v3, v5, v3
	s_cmp_eq_u32 s28, 1
	v_mul_lo_u32 v4, s8, v1
	v_mul_hi_u32 v4, v1, v4
	v_add_u32_e32 v1, v1, v4
	v_mul_hi_u32 v1, v3, v1
	v_mul_lo_u32 v4, v1, s28
	v_sub_u32_e32 v3, v3, v4
	v_add_u32_e32 v5, 1, v1
	v_cmp_le_u32_e64 s[0:1], s28, v3
	v_subrev_u32_e32 v4, s28, v3
	v_cndmask_b32_e64 v1, v1, v5, s[0:1]
	v_cndmask_b32_e64 v3, v3, v4, s[0:1]
	v_add_u32_e32 v4, 1, v1
	v_cmp_le_u32_e64 s[0:1], s28, v3
	v_cndmask_b32_e64 v1, v1, v4, s[0:1]
	v_addc_co_u32_e32 v1, vcc, 1, v1, vcc
	v_cmp_lt_u32_e32 vcc, 31, v1
	s_cselect_b64 s[0:1], -1, 0
	s_and_b64 s[10:11], vcc, s[0:1]
	s_mov_b64 s[0:1], -1
	s_and_saveexec_b64 s[8:9], s[10:11]
	s_cbranch_execz .LBB15_62
; %bb.59:
	s_lshl_b64 s[0:1], s[4:5], 1
	s_add_u32 s14, s31, s0
	s_addc_u32 s16, s33, s1
	s_add_u32 s15, s34, s0
	s_addc_u32 s0, s35, s1
	v_and_b32_e32 v3, 0xffffffe0, v1
	s_mov_b64 s[10:11], 0
	v_mov_b32_e32 v6, s0
	v_mov_b32_e32 v7, s16
	v_mov_b32_e32 v4, v2
	v_mov_b32_e32 v8, v3
.LBB15_60:                              ; =>This Inner Loop Header: Depth=1
	v_ashrrev_i32_e32 v5, 31, v4
	v_lshlrev_b64 v[26:27], 1, v[4:5]
	v_add_co_u32_e32 v28, vcc, s14, v26
	v_addc_co_u32_e32 v29, vcc, v7, v27, vcc
	global_load_dwordx4 v[10:13], v[28:29], off
	global_load_dwordx4 v[14:17], v[28:29], off offset:16
	global_load_dwordx4 v[18:21], v[28:29], off offset:32
	;; [unrolled: 1-line block ×3, first 2 shown]
	v_subrev_u32_e32 v8, 32, v8
	v_cmp_eq_u32_e32 vcc, 0, v8
	v_add_co_u32_e64 v26, s[0:1], s15, v26
	v_addc_co_u32_e64 v27, s[0:1], v6, v27, s[0:1]
	s_or_b64 s[10:11], vcc, s[10:11]
	v_add_u32_e32 v4, 32, v4
	s_waitcnt vmcnt(3)
	global_store_dwordx4 v[26:27], v[10:13], off
	s_waitcnt vmcnt(3)
	global_store_dwordx4 v[26:27], v[14:17], off offset:16
	s_waitcnt vmcnt(3)
	global_store_dwordx4 v[26:27], v[18:21], off offset:32
	;; [unrolled: 2-line block ×3, first 2 shown]
	s_andn2_b64 exec, exec, s[10:11]
	s_cbranch_execnz .LBB15_60
; %bb.61:
	s_or_b64 exec, exec, s[10:11]
	v_cmp_ne_u32_e32 vcc, v1, v3
	v_add_u32_e32 v2, v2, v3
	s_orn2_b64 s[0:1], vcc, exec
.LBB15_62:
	s_or_b64 exec, exec, s[8:9]
	s_and_b64 exec, exec, s[0:1]
	s_cbranch_execz .LBB15_65
; %bb.63:
	v_ashrrev_i32_e32 v3, 31, v2
	s_lshl_b64 s[0:1], s[4:5], 1
	v_lshlrev_b64 v[4:5], 1, v[2:3]
	v_mov_b32_e32 v1, s1
	v_add_co_u32_e32 v4, vcc, s0, v4
	s_mov_b32 s5, 0
	v_addc_co_u32_e32 v1, vcc, v1, v5, vcc
	s_lshl_b32 s4, s28, 1
	s_mov_b64 s[0:1], 0
	v_mov_b32_e32 v3, s35
	v_mov_b32_e32 v5, s33
	;; [unrolled: 1-line block ×3, first 2 shown]
.LBB15_64:                              ; =>This Inner Loop Header: Depth=1
	v_add_co_u32_e32 v8, vcc, s31, v4
	v_addc_co_u32_e32 v9, vcc, v5, v1, vcc
	global_load_ushort v7, v[8:9], off
	v_add_co_u32_e32 v8, vcc, s34, v4
	v_addc_co_u32_e32 v9, vcc, v3, v1, vcc
	v_add_co_u32_e32 v4, vcc, s4, v4
	v_add_u32_e32 v2, s28, v2
	v_addc_co_u32_e32 v1, vcc, v1, v6, vcc
	v_cmp_le_i32_e32 vcc, s13, v2
	s_or_b64 s[0:1], vcc, s[0:1]
	s_waitcnt vmcnt(0)
	global_store_short v[8:9], v7, off
	s_andn2_b64 exec, exec, s[0:1]
	s_cbranch_execnz .LBB15_64
.LBB15_65:
	s_or_b64 exec, exec, s[6:7]
	s_mov_b64 s[0:1], 0
.LBB15_66:
	s_and_b64 vcc, exec, s[0:1]
	s_cbranch_vccz .LBB15_71
; %bb.67:
	s_ashr_i32 s6, s12, 3
	v_cmp_gt_i32_e32 vcc, s6, v0
	s_and_saveexec_b64 s[0:1], vcc
	s_cbranch_execz .LBB15_70
; %bb.68:
	s_mov_b32 s8, 0
	v_lshl_or_b32 v2, v0, 4, 8
	v_mov_b32_e32 v1, 0
	s_lshl_b32 s7, s28, 4
	s_mov_b64 s[4:5], 0
	v_mov_b32_e32 v3, s33
	v_mov_b32_e32 v4, s35
	;; [unrolled: 1-line block ×4, first 2 shown]
.LBB15_69:                              ; =>This Inner Loop Header: Depth=1
	v_add_co_u32_e32 v8, vcc, s31, v2
	v_addc_co_u32_e32 v9, vcc, v3, v1, vcc
	global_load_dwordx4 v[8:11], v[8:9], off offset:-8
	v_add_co_u32_e32 v12, vcc, s34, v2
	v_addc_co_u32_e32 v13, vcc, v4, v1, vcc
	v_add_co_u32_e32 v2, vcc, s7, v2
	v_add_u32_e32 v6, s28, v6
	v_addc_co_u32_e32 v1, vcc, v1, v5, vcc
	v_cmp_le_i32_e32 vcc, s6, v6
	s_or_b64 s[4:5], vcc, s[4:5]
	s_waitcnt vmcnt(0)
	global_store_dwordx4 v[12:13], v[8:11], off offset:-8
	s_andn2_b64 exec, exec, s[4:5]
	s_cbranch_execnz .LBB15_69
.LBB15_70:
	s_or_b64 exec, exec, s[0:1]
.LBB15_71:
	s_and_b32 s0, s26, 15
	s_mov_b32 s1, 0
	s_cmp_lg_u64 s[0:1], 0
	s_cselect_b64 s[4:5], -1, 0
	s_xor_b64 s[2:3], s[2:3], -1
	s_or_b64 s[2:3], s[2:3], s[4:5]
	s_mov_b64 s[0:1], -1
	s_and_b64 vcc, exec, s[2:3]
	s_cbranch_vccz .LBB15_87
; %bb.72:
	s_sub_i32 s0, 0, s26
	s_bfe_u32 s0, s0, 0x30001
	s_min_i32 s2, s0, s12
	v_cmp_gt_i32_e32 vcc, s2, v0
	s_and_saveexec_b64 s[0:1], vcc
	s_cbranch_execz .LBB15_75
; %bb.73:
	s_mov_b32 s6, 0
	v_lshlrev_b32_e32 v2, 1, v0
	v_mov_b32_e32 v1, 0
	s_lshl_b32 s3, s28, 1
	s_mov_b64 s[4:5], 0
	v_mov_b32_e32 v3, s30
	v_mov_b32_e32 v4, s29
	;; [unrolled: 1-line block ×4, first 2 shown]
.LBB15_74:                              ; =>This Inner Loop Header: Depth=1
	v_add_co_u32_e32 v8, vcc, s26, v2
	v_addc_co_u32_e32 v9, vcc, v4, v1, vcc
	global_load_ushort v7, v[8:9], off
	v_add_co_u32_e32 v8, vcc, s27, v2
	v_addc_co_u32_e32 v9, vcc, v3, v1, vcc
	v_add_co_u32_e32 v2, vcc, s3, v2
	v_add_u32_e32 v6, s28, v6
	v_addc_co_u32_e32 v1, vcc, v1, v5, vcc
	v_cmp_le_i32_e32 vcc, s2, v6
	s_or_b64 s[4:5], vcc, s[4:5]
	s_waitcnt vmcnt(0)
	global_store_short v[8:9], v7, off
	s_andn2_b64 exec, exec, s[4:5]
	s_cbranch_execnz .LBB15_74
.LBB15_75:
	s_or_b64 exec, exec, s[0:1]
	s_sub_i32 s10, s12, s2
	s_ashr_i32 s0, s10, 31
	s_lshr_b32 s0, s0, 29
	s_add_i32 s0, s10, s0
	s_ashr_i32 s6, s0, 3
	s_ashr_i32 s3, s2, 31
	v_cmp_gt_i32_e32 vcc, s6, v0
	s_and_saveexec_b64 s[0:1], vcc
	s_cbranch_execz .LBB15_78
; %bb.76:
	v_lshlrev_b32_e32 v1, 4, v0
	s_lshl_b64 s[4:5], s[2:3], 1
	v_mov_b32_e32 v2, s5
	v_add_co_u32_e32 v1, vcc, s4, v1
	v_addc_co_u32_e32 v3, vcc, 0, v2, vcc
	s_mov_b32 s8, 0
	v_add_co_u32_e32 v2, vcc, 8, v1
	v_addc_co_u32_e32 v1, vcc, 0, v3, vcc
	s_lshl_b32 s7, s28, 4
	s_mov_b64 s[4:5], 0
	v_mov_b32_e32 v3, s29
	v_mov_b32_e32 v4, s30
	;; [unrolled: 1-line block ×4, first 2 shown]
.LBB15_77:                              ; =>This Inner Loop Header: Depth=1
	v_add_co_u32_e32 v8, vcc, s26, v2
	v_addc_co_u32_e32 v9, vcc, v3, v1, vcc
	global_load_dwordx4 v[8:11], v[8:9], off offset:-8
	v_add_co_u32_e32 v12, vcc, s27, v2
	v_addc_co_u32_e32 v13, vcc, v4, v1, vcc
	v_add_co_u32_e32 v2, vcc, s7, v2
	v_add_u32_e32 v6, s28, v6
	v_addc_co_u32_e32 v1, vcc, v1, v5, vcc
	v_cmp_le_i32_e32 vcc, s6, v6
	s_or_b64 s[4:5], vcc, s[4:5]
	s_waitcnt vmcnt(0)
	global_store_dwordx4 v[12:13], v[8:11], off offset:-8
	s_andn2_b64 exec, exec, s[4:5]
	s_cbranch_execnz .LBB15_77
.LBB15_78:
	s_or_b64 exec, exec, s[0:1]
	v_lshl_add_u32 v2, s6, 3, v0
	v_cmp_gt_i32_e32 vcc, s10, v2
	s_and_saveexec_b64 s[4:5], vcc
	s_cbranch_execz .LBB15_86
; %bb.79:
	v_cvt_f32_u32_e32 v1, s28
	v_add_u32_e32 v3, s28, v2
	v_mov_b32_e32 v4, s28
	s_sub_i32 s6, 0, s28
	v_rcp_iflag_f32_e32 v1, v1
	v_cmp_gt_i32_e32 vcc, s10, v3
	v_max_i32_e32 v5, s10, v3
	v_addc_co_u32_e64 v3, s[0:1], v2, v4, vcc
	v_mul_f32_e32 v1, 0x4f7ffffe, v1
	v_cvt_u32_f32_e32 v1, v1
	v_sub_u32_e32 v3, v5, v3
	s_cmp_eq_u32 s28, 1
	v_mul_lo_u32 v4, s6, v1
	v_mul_hi_u32 v4, v1, v4
	v_add_u32_e32 v1, v1, v4
	v_mul_hi_u32 v1, v3, v1
	v_mul_lo_u32 v4, v1, s28
	v_sub_u32_e32 v3, v3, v4
	v_add_u32_e32 v5, 1, v1
	v_cmp_le_u32_e64 s[0:1], s28, v3
	v_subrev_u32_e32 v4, s28, v3
	v_cndmask_b32_e64 v1, v1, v5, s[0:1]
	v_cndmask_b32_e64 v3, v3, v4, s[0:1]
	v_add_u32_e32 v4, 1, v1
	v_cmp_le_u32_e64 s[0:1], s28, v3
	v_cndmask_b32_e64 v1, v1, v4, s[0:1]
	v_addc_co_u32_e32 v1, vcc, 1, v1, vcc
	v_cmp_lt_u32_e32 vcc, 31, v1
	s_cselect_b64 s[0:1], -1, 0
	s_and_b64 s[8:9], vcc, s[0:1]
	s_mov_b64 s[0:1], -1
	s_and_saveexec_b64 s[6:7], s[8:9]
	s_cbranch_execz .LBB15_83
; %bb.80:
	s_lshl_b64 s[0:1], s[2:3], 1
	s_add_u32 s11, s26, s0
	s_addc_u32 s14, s29, s1
	s_add_u32 s13, s27, s0
	s_addc_u32 s0, s30, s1
	v_and_b32_e32 v3, 0xffffffe0, v1
	s_mov_b64 s[8:9], 0
	v_mov_b32_e32 v6, s0
	v_mov_b32_e32 v7, s14
	;; [unrolled: 1-line block ×4, first 2 shown]
.LBB15_81:                              ; =>This Inner Loop Header: Depth=1
	v_ashrrev_i32_e32 v5, 31, v4
	v_lshlrev_b64 v[26:27], 1, v[4:5]
	v_add_co_u32_e32 v28, vcc, s11, v26
	v_addc_co_u32_e32 v29, vcc, v7, v27, vcc
	global_load_dwordx4 v[10:13], v[28:29], off
	global_load_dwordx4 v[14:17], v[28:29], off offset:16
	global_load_dwordx4 v[18:21], v[28:29], off offset:32
	;; [unrolled: 1-line block ×3, first 2 shown]
	v_subrev_u32_e32 v8, 32, v8
	v_cmp_eq_u32_e32 vcc, 0, v8
	v_add_co_u32_e64 v26, s[0:1], s13, v26
	v_addc_co_u32_e64 v27, s[0:1], v6, v27, s[0:1]
	s_or_b64 s[8:9], vcc, s[8:9]
	v_add_u32_e32 v4, 32, v4
	s_waitcnt vmcnt(3)
	global_store_dwordx4 v[26:27], v[10:13], off
	s_waitcnt vmcnt(3)
	global_store_dwordx4 v[26:27], v[14:17], off offset:16
	s_waitcnt vmcnt(3)
	global_store_dwordx4 v[26:27], v[18:21], off offset:32
	;; [unrolled: 2-line block ×3, first 2 shown]
	s_andn2_b64 exec, exec, s[8:9]
	s_cbranch_execnz .LBB15_81
; %bb.82:
	s_or_b64 exec, exec, s[8:9]
	v_cmp_ne_u32_e32 vcc, v1, v3
	v_add_u32_e32 v2, v2, v3
	s_orn2_b64 s[0:1], vcc, exec
.LBB15_83:
	s_or_b64 exec, exec, s[6:7]
	s_and_b64 exec, exec, s[0:1]
	s_cbranch_execz .LBB15_86
; %bb.84:
	v_ashrrev_i32_e32 v3, 31, v2
	s_lshl_b64 s[0:1], s[2:3], 1
	v_lshlrev_b64 v[4:5], 1, v[2:3]
	v_mov_b32_e32 v1, s1
	v_add_co_u32_e32 v4, vcc, s0, v4
	s_mov_b32 s3, 0
	v_addc_co_u32_e32 v1, vcc, v1, v5, vcc
	s_lshl_b32 s2, s28, 1
	s_mov_b64 s[0:1], 0
	v_mov_b32_e32 v3, s30
	v_mov_b32_e32 v5, s29
	;; [unrolled: 1-line block ×3, first 2 shown]
.LBB15_85:                              ; =>This Inner Loop Header: Depth=1
	v_add_co_u32_e32 v8, vcc, s26, v4
	v_addc_co_u32_e32 v9, vcc, v5, v1, vcc
	global_load_ushort v7, v[8:9], off
	v_add_co_u32_e32 v8, vcc, s27, v4
	v_addc_co_u32_e32 v9, vcc, v3, v1, vcc
	v_add_co_u32_e32 v4, vcc, s2, v4
	v_add_u32_e32 v2, s28, v2
	v_addc_co_u32_e32 v1, vcc, v1, v6, vcc
	v_cmp_le_i32_e32 vcc, s10, v2
	s_or_b64 s[0:1], vcc, s[0:1]
	s_waitcnt vmcnt(0)
	global_store_short v[8:9], v7, off
	s_andn2_b64 exec, exec, s[0:1]
	s_cbranch_execnz .LBB15_85
.LBB15_86:
	s_or_b64 exec, exec, s[4:5]
	s_mov_b64 s[0:1], 0
.LBB15_87:
	s_and_b64 vcc, exec, s[0:1]
	s_cbranch_vccz .LBB15_91
; %bb.88:
	s_ashr_i32 s2, s12, 3
	v_cmp_gt_i32_e32 vcc, s2, v0
	s_and_saveexec_b64 s[0:1], vcc
	s_cbranch_execz .LBB15_91
; %bb.89:
	s_mov_b32 s4, 0
	v_lshl_or_b32 v2, v0, 4, 8
	v_mov_b32_e32 v1, 0
	s_lshl_b32 s3, s28, 4
	s_mov_b64 s[0:1], 0
	v_mov_b32_e32 v3, s29
	v_mov_b32_e32 v4, s30
	;; [unrolled: 1-line block ×3, first 2 shown]
.LBB15_90:                              ; =>This Inner Loop Header: Depth=1
	v_add_co_u32_e32 v6, vcc, s26, v2
	v_addc_co_u32_e32 v7, vcc, v3, v1, vcc
	global_load_dwordx4 v[6:9], v[6:7], off offset:-8
	v_add_co_u32_e32 v10, vcc, s27, v2
	v_addc_co_u32_e32 v11, vcc, v4, v1, vcc
	v_add_co_u32_e32 v2, vcc, s3, v2
	v_add_u32_e32 v0, s28, v0
	v_addc_co_u32_e32 v1, vcc, v1, v5, vcc
	v_cmp_le_i32_e32 vcc, s2, v0
	s_or_b64 s[0:1], vcc, s[0:1]
	s_waitcnt vmcnt(0)
	global_store_dwordx4 v[10:11], v[6:9], off offset:-8
	s_andn2_b64 exec, exec, s[0:1]
	s_cbranch_execnz .LBB15_90
.LBB15_91:
	s_endpgm
.LBB15_92:
                                        ; implicit-def: $sgpr0_sgpr1
	s_branch .LBB15_3
	.section	.rodata,"a",@progbits
	.p2align	6, 0x0
	.amdhsa_kernel _ZN4vllm30reshape_and_cache_flash_kernelIttLNS_18Fp8KVCacheDataTypeE0EEEvPKT_S4_PT0_S6_PKlllllliiiPKfSA_
		.amdhsa_group_segment_fixed_size 0
		.amdhsa_private_segment_fixed_size 0
		.amdhsa_kernarg_size 368
		.amdhsa_user_sgpr_count 6
		.amdhsa_user_sgpr_private_segment_buffer 1
		.amdhsa_user_sgpr_dispatch_ptr 0
		.amdhsa_user_sgpr_queue_ptr 0
		.amdhsa_user_sgpr_kernarg_segment_ptr 1
		.amdhsa_user_sgpr_dispatch_id 0
		.amdhsa_user_sgpr_flat_scratch_init 0
		.amdhsa_user_sgpr_kernarg_preload_length 0
		.amdhsa_user_sgpr_kernarg_preload_offset 0
		.amdhsa_user_sgpr_private_segment_size 0
		.amdhsa_uses_dynamic_stack 0
		.amdhsa_system_sgpr_private_segment_wavefront_offset 0
		.amdhsa_system_sgpr_workgroup_id_x 1
		.amdhsa_system_sgpr_workgroup_id_y 0
		.amdhsa_system_sgpr_workgroup_id_z 0
		.amdhsa_system_sgpr_workgroup_info 0
		.amdhsa_system_vgpr_workitem_id 0
		.amdhsa_next_free_vgpr 61
		.amdhsa_next_free_sgpr 42
		.amdhsa_accum_offset 64
		.amdhsa_reserve_vcc 1
		.amdhsa_reserve_flat_scratch 0
		.amdhsa_float_round_mode_32 0
		.amdhsa_float_round_mode_16_64 0
		.amdhsa_float_denorm_mode_32 3
		.amdhsa_float_denorm_mode_16_64 3
		.amdhsa_dx10_clamp 1
		.amdhsa_ieee_mode 1
		.amdhsa_fp16_overflow 0
		.amdhsa_tg_split 0
		.amdhsa_exception_fp_ieee_invalid_op 0
		.amdhsa_exception_fp_denorm_src 0
		.amdhsa_exception_fp_ieee_div_zero 0
		.amdhsa_exception_fp_ieee_overflow 0
		.amdhsa_exception_fp_ieee_underflow 0
		.amdhsa_exception_fp_ieee_inexact 0
		.amdhsa_exception_int_div_zero 0
	.end_amdhsa_kernel
	.section	.text._ZN4vllm30reshape_and_cache_flash_kernelIttLNS_18Fp8KVCacheDataTypeE0EEEvPKT_S4_PT0_S6_PKlllllliiiPKfSA_,"axG",@progbits,_ZN4vllm30reshape_and_cache_flash_kernelIttLNS_18Fp8KVCacheDataTypeE0EEEvPKT_S4_PT0_S6_PKlllllliiiPKfSA_,comdat
.Lfunc_end15:
	.size	_ZN4vllm30reshape_and_cache_flash_kernelIttLNS_18Fp8KVCacheDataTypeE0EEEvPKT_S4_PT0_S6_PKlllllliiiPKfSA_, .Lfunc_end15-_ZN4vllm30reshape_and_cache_flash_kernelIttLNS_18Fp8KVCacheDataTypeE0EEEvPKT_S4_PT0_S6_PKlllllliiiPKfSA_
                                        ; -- End function
	.section	.AMDGPU.csdata,"",@progbits
; Kernel info:
; codeLenInByte = 5284
; NumSgprs: 46
; NumVgprs: 61
; NumAgprs: 0
; TotalNumVgprs: 61
; ScratchSize: 0
; MemoryBound: 0
; FloatMode: 240
; IeeeMode: 1
; LDSByteSize: 0 bytes/workgroup (compile time only)
; SGPRBlocks: 5
; VGPRBlocks: 7
; NumSGPRsForWavesPerEU: 46
; NumVGPRsForWavesPerEU: 61
; AccumOffset: 64
; Occupancy: 8
; WaveLimiterHint : 0
; COMPUTE_PGM_RSRC2:SCRATCH_EN: 0
; COMPUTE_PGM_RSRC2:USER_SGPR: 6
; COMPUTE_PGM_RSRC2:TRAP_HANDLER: 0
; COMPUTE_PGM_RSRC2:TGID_X_EN: 1
; COMPUTE_PGM_RSRC2:TGID_Y_EN: 0
; COMPUTE_PGM_RSRC2:TGID_Z_EN: 0
; COMPUTE_PGM_RSRC2:TIDIG_COMP_CNT: 0
; COMPUTE_PGM_RSRC3_GFX90A:ACCUM_OFFSET: 15
; COMPUTE_PGM_RSRC3_GFX90A:TG_SPLIT: 0
	.section	.text._ZN4vllm30reshape_and_cache_flash_kernelI14__hip_bfloat16S1_LNS_18Fp8KVCacheDataTypeE0EEEvPKT_S5_PT0_S7_PKlllllliiiPKfSB_,"axG",@progbits,_ZN4vllm30reshape_and_cache_flash_kernelI14__hip_bfloat16S1_LNS_18Fp8KVCacheDataTypeE0EEEvPKT_S5_PT0_S7_PKlllllliiiPKfSB_,comdat
	.protected	_ZN4vllm30reshape_and_cache_flash_kernelI14__hip_bfloat16S1_LNS_18Fp8KVCacheDataTypeE0EEEvPKT_S5_PT0_S7_PKlllllliiiPKfSB_ ; -- Begin function _ZN4vllm30reshape_and_cache_flash_kernelI14__hip_bfloat16S1_LNS_18Fp8KVCacheDataTypeE0EEEvPKT_S5_PT0_S7_PKlllllliiiPKfSB_
	.globl	_ZN4vllm30reshape_and_cache_flash_kernelI14__hip_bfloat16S1_LNS_18Fp8KVCacheDataTypeE0EEEvPKT_S5_PT0_S7_PKlllllliiiPKfSB_
	.p2align	8
	.type	_ZN4vllm30reshape_and_cache_flash_kernelI14__hip_bfloat16S1_LNS_18Fp8KVCacheDataTypeE0EEEvPKT_S5_PT0_S7_PKlllllliiiPKfSB_,@function
_ZN4vllm30reshape_and_cache_flash_kernelI14__hip_bfloat16S1_LNS_18Fp8KVCacheDataTypeE0EEEvPKT_S5_PT0_S7_PKlllllliiiPKfSB_: ; @_ZN4vllm30reshape_and_cache_flash_kernelI14__hip_bfloat16S1_LNS_18Fp8KVCacheDataTypeE0EEEvPKT_S5_PT0_S7_PKlllllliiiPKfSB_
; %bb.0:
	s_load_dwordx2 s[0:1], s[4:5], 0x20
	s_mov_b32 s7, 0
	s_lshl_b64 s[2:3], s[6:7], 3
	s_waitcnt lgkmcnt(0)
	s_add_u32 s0, s0, s2
	s_addc_u32 s1, s1, s3
	s_load_dwordx2 s[2:3], s[0:1], 0x0
	s_waitcnt lgkmcnt(0)
	v_cmp_lt_i64_e64 s[0:1], s[2:3], 0
	s_and_b64 vcc, exec, s[0:1]
	s_cbranch_vccnz .LBB16_91
; %bb.1:
	s_load_dwordx4 s[24:27], s[4:5], 0x50
	s_load_dwordx8 s[16:23], s[4:5], 0x0
	s_waitcnt lgkmcnt(0)
	s_ashr_i32 s27, s26, 31
	s_or_b64 s[0:1], s[2:3], s[26:27]
	s_mov_b32 s0, s7
	s_cmp_lg_u64 s[0:1], 0
	s_cbranch_scc0 .LBB16_92
; %bb.2:
	s_add_u32 s0, s26, s27
	s_mov_b32 s10, s27
	s_mov_b32 s11, s27
	s_addc_u32 s1, s27, s27
	s_xor_b64 s[12:13], s[0:1], s[10:11]
	v_cvt_f32_u32_e32 v1, s12
	v_cvt_f32_u32_e32 v2, s13
	s_sub_u32 s0, 0, s12
	s_subb_u32 s1, 0, s13
	v_madmk_f32 v1, v2, 0x4f800000, v1
	v_rcp_f32_e32 v1, v1
	v_mul_f32_e32 v1, 0x5f7ffffc, v1
	v_mul_f32_e32 v2, 0x2f800000, v1
	v_trunc_f32_e32 v2, v2
	v_madmk_f32 v1, v2, 0xcf800000, v1
	v_cvt_u32_f32_e32 v2, v2
	v_cvt_u32_f32_e32 v1, v1
	v_readfirstlane_b32 s7, v2
	v_readfirstlane_b32 s14, v1
	s_mul_i32 s15, s0, s7
	s_mul_hi_u32 s29, s0, s14
	s_mul_i32 s28, s1, s14
	s_add_i32 s15, s29, s15
	s_add_i32 s15, s15, s28
	s_mul_i32 s30, s0, s14
	s_mul_hi_u32 s28, s14, s15
	s_mul_i32 s29, s14, s15
	s_mul_hi_u32 s14, s14, s30
	s_add_u32 s14, s14, s29
	s_addc_u32 s28, 0, s28
	s_mul_hi_u32 s31, s7, s30
	s_mul_i32 s30, s7, s30
	s_add_u32 s14, s14, s30
	s_mul_hi_u32 s29, s7, s15
	s_addc_u32 s14, s28, s31
	s_addc_u32 s28, s29, 0
	s_mul_i32 s15, s7, s15
	s_add_u32 s14, s14, s15
	s_addc_u32 s15, 0, s28
	v_add_co_u32_e32 v1, vcc, s14, v1
	s_cmp_lg_u64 vcc, 0
	s_addc_u32 s7, s7, s15
	v_readfirstlane_b32 s15, v1
	s_mul_i32 s14, s0, s7
	s_mul_hi_u32 s28, s0, s15
	s_add_i32 s14, s28, s14
	s_mul_i32 s1, s1, s15
	s_add_i32 s14, s14, s1
	s_mul_i32 s0, s0, s15
	s_mul_hi_u32 s28, s7, s0
	s_mul_i32 s29, s7, s0
	s_mul_i32 s31, s15, s14
	s_mul_hi_u32 s0, s15, s0
	s_mul_hi_u32 s30, s15, s14
	s_add_u32 s0, s0, s31
	s_addc_u32 s15, 0, s30
	s_add_u32 s0, s0, s29
	s_mul_hi_u32 s1, s7, s14
	s_addc_u32 s0, s15, s28
	s_addc_u32 s1, s1, 0
	s_mul_i32 s14, s7, s14
	s_add_u32 s0, s0, s14
	s_addc_u32 s1, 0, s1
	v_add_co_u32_e32 v1, vcc, s0, v1
	s_cmp_lg_u64 vcc, 0
	s_addc_u32 s7, s7, s1
	s_ashr_i32 s14, s3, 31
	s_add_u32 s0, s2, s14
	s_mov_b32 s15, s14
	s_addc_u32 s1, s3, s14
	s_xor_b64 s[28:29], s[0:1], s[14:15]
	v_readfirstlane_b32 s30, v1
	s_mul_i32 s1, s28, s7
	s_mul_hi_u32 s31, s28, s30
	s_mul_hi_u32 s0, s28, s7
	s_add_u32 s1, s31, s1
	s_addc_u32 s0, 0, s0
	s_mul_hi_u32 s33, s29, s30
	s_mul_i32 s30, s29, s30
	s_add_u32 s1, s1, s30
	s_mul_hi_u32 s31, s29, s7
	s_addc_u32 s0, s0, s33
	s_addc_u32 s1, s31, 0
	s_mul_i32 s7, s29, s7
	s_add_u32 s7, s0, s7
	s_addc_u32 s30, 0, s1
	s_mul_i32 s0, s12, s30
	s_mul_hi_u32 s1, s12, s7
	s_add_i32 s0, s1, s0
	s_mul_i32 s1, s13, s7
	s_add_i32 s31, s0, s1
	s_mul_i32 s1, s12, s7
	v_mov_b32_e32 v1, s1
	s_sub_i32 s0, s29, s31
	v_sub_co_u32_e32 v1, vcc, s28, v1
	s_cmp_lg_u64 vcc, 0
	s_subb_u32 s28, s0, s13
	v_subrev_co_u32_e64 v2, s[0:1], s12, v1
	s_cmp_lg_u64 s[0:1], 0
	s_subb_u32 s0, s28, 0
	s_cmp_ge_u32 s0, s13
	v_readfirstlane_b32 s28, v2
	s_cselect_b32 s1, -1, 0
	s_cmp_ge_u32 s28, s12
	s_cselect_b32 s28, -1, 0
	s_cmp_eq_u32 s0, s13
	s_cselect_b32 s0, s28, s1
	s_add_u32 s1, s7, 1
	s_addc_u32 s28, s30, 0
	s_add_u32 s33, s7, 2
	s_addc_u32 s34, s30, 0
	s_cmp_lg_u32 s0, 0
	s_cselect_b32 s0, s33, s1
	s_cselect_b32 s1, s34, s28
	s_cmp_lg_u64 vcc, 0
	s_subb_u32 s28, s29, s31
	s_cmp_ge_u32 s28, s13
	v_readfirstlane_b32 s31, v1
	s_cselect_b32 s29, -1, 0
	s_cmp_ge_u32 s31, s12
	s_cselect_b32 s12, -1, 0
	s_cmp_eq_u32 s28, s13
	s_cselect_b32 s12, s12, s29
	s_cmp_lg_u32 s12, 0
	s_cselect_b32 s1, s1, s30
	s_cselect_b32 s0, s0, s7
	s_xor_b64 s[10:11], s[14:15], s[10:11]
	s_xor_b64 s[0:1], s[0:1], s[10:11]
	s_sub_u32 s0, s0, s10
	s_subb_u32 s1, s1, s11
	s_cbranch_execnz .LBB16_4
.LBB16_3:
	v_cvt_f32_u32_e32 v1, s26
	s_sub_i32 s0, 0, s26
	s_mov_b32 s1, 0
	v_rcp_iflag_f32_e32 v1, v1
	v_mul_f32_e32 v1, 0x4f7ffffe, v1
	v_cvt_u32_f32_e32 v1, v1
	v_readfirstlane_b32 s7, v1
	s_mul_i32 s0, s0, s7
	s_mul_hi_u32 s0, s7, s0
	s_add_i32 s7, s7, s0
	s_mul_hi_u32 s0, s2, s7
	s_mul_i32 s8, s0, s26
	s_sub_i32 s8, s2, s8
	s_add_i32 s7, s0, 1
	s_sub_i32 s9, s8, s26
	s_cmp_ge_u32 s8, s26
	s_cselect_b32 s0, s7, s0
	s_cselect_b32 s8, s9, s8
	s_add_i32 s7, s0, 1
	s_cmp_ge_u32 s8, s26
	s_cselect_b32 s0, s7, s0
.LBB16_4:
	s_load_dwordx8 s[8:15], s[4:5], 0x28
	s_mul_i32 s7, s0, s27
	s_mul_hi_u32 s27, s0, s26
	s_add_i32 s7, s27, s7
	s_mul_i32 s27, s1, s26
	s_add_i32 s7, s7, s27
	s_mul_i32 s26, s0, s26
	s_sub_u32 s27, s2, s26
	s_subb_u32 s28, s3, s7
	s_waitcnt lgkmcnt(0)
	s_mul_i32 s2, s6, s15
	s_mul_hi_u32 s3, s6, s14
	s_add_i32 s3, s3, s2
	s_mul_i32 s2, s6, s14
	s_load_dwordx2 s[14:15], s[4:5], 0x48
	s_load_dword s36, s[4:5], 0x7c
	s_lshl_b64 s[2:3], s[2:3], 1
	s_add_u32 s31, s16, s2
	s_addc_u32 s33, s17, s3
	s_waitcnt lgkmcnt(0)
	s_mul_i32 s4, s6, s15
	s_mul_hi_u32 s5, s6, s14
	s_add_i32 s5, s5, s4
	s_mul_i32 s4, s6, s14
	s_lshl_b64 s[14:15], s[4:5], 1
	s_add_u32 s26, s18, s14
	s_mul_i32 s4, s0, s9
	s_mul_hi_u32 s5, s0, s8
	s_addc_u32 s29, s19, s15
	s_add_i32 s4, s5, s4
	s_mul_i32 s1, s1, s8
	s_add_i32 s1, s4, s1
	s_mul_i32 s0, s0, s8
	s_lshl_b64 s[6:7], s[0:1], 1
	s_add_u32 s4, s20, s6
	s_mul_i32 s0, s27, s11
	s_mul_hi_u32 s1, s27, s10
	s_addc_u32 s5, s21, s7
	s_add_i32 s0, s1, s0
	s_mul_i32 s28, s28, s10
	s_add_i32 s1, s0, s28
	s_mul_i32 s0, s27, s10
	s_lshl_b64 s[8:9], s[0:1], 1
	s_add_u32 s34, s4, s8
	s_addc_u32 s35, s5, s9
	s_add_u32 s0, s22, s6
	s_addc_u32 s1, s23, s7
	s_add_u32 s27, s0, s8
	s_addc_u32 s30, s1, s9
	s_ashr_i32 s1, s25, 31
	s_mov_b32 s0, s25
	s_and_b32 s28, s36, 0xffff
	s_cmp_lg_u64 s[0:1], s[12:13]
	s_mov_b64 s[0:1], -1
	s_cbranch_scc0 .LBB16_49
; %bb.5:
	v_lshrrev_b32_e32 v19, 5, v0
	v_cmp_gt_i32_e32 vcc, s24, v19
	s_and_saveexec_b64 s[4:5], vcc
	s_cbranch_execz .LBB16_48
; %bb.6:
	s_lshr_b32 s36, s28, 5
	s_and_b32 s0, s25, 7
	v_mad_u64_u32 v[2:3], s[38:39], s12, v19, 0
	s_cmp_eq_u32 s0, 0
	v_mov_b32_e32 v4, v3
	s_cselect_b64 s[10:11], -1, 0
	s_ashr_i32 s37, s25, 3
	v_mad_u64_u32 v[4:5], s[38:39], s13, v19, v[4:5]
	v_mov_b32_e32 v3, v4
	s_add_u32 s6, s8, s6
	v_lshlrev_b64 v[2:3], 1, v[2:3]
	s_addc_u32 s7, s9, s7
	v_and_b32_e32 v8, 31, v0
	v_mov_b32_e32 v1, s7
	v_add_co_u32_e32 v2, vcc, s6, v2
	v_addc_co_u32_e32 v3, vcc, v1, v3, vcc
	v_lshlrev_b32_e32 v4, 4, v8
	v_add_co_u32_e32 v1, vcc, v2, v4
	v_addc_co_u32_e32 v5, vcc, 0, v3, vcc
	s_mul_i32 s6, s13, s36
	s_mul_hi_u32 s7, s12, s36
	v_add_co_u32_e32 v6, vcc, 8, v1
	s_add_i32 s7, s7, s6
	s_mul_i32 s6, s12, s36
	v_addc_co_u32_e32 v5, vcc, 0, v5, vcc
	s_lshl_b64 s[6:7], s[6:7], 1
	v_mov_b32_e32 v7, s21
	v_add_co_u32_e32 v12, vcc, s20, v6
	s_add_u32 s38, s16, s2
	v_addc_co_u32_e32 v1, vcc, v7, v5, vcc
	s_addc_u32 s39, s17, s3
	v_mov_b32_e32 v9, s39
	v_add_co_u32_e32 v10, vcc, s38, v4
	v_addc_co_u32_e32 v9, vcc, 0, v9, vcc
	v_add_co_u32_e32 v31, vcc, 8, v10
	v_addc_co_u32_e32 v32, vcc, 0, v9, vcc
	;; [unrolled: 2-line block ×3, first 2 shown]
	v_mov_b32_e32 v7, s23
	v_add_co_u32_e32 v18, vcc, s22, v6
	s_add_u32 s23, s18, s14
	v_addc_co_u32_e32 v13, vcc, v7, v5, vcc
	s_addc_u32 s41, s19, s15
	v_mov_b32_e32 v5, s41
	v_add_co_u32_e32 v4, vcc, s23, v4
	v_addc_co_u32_e32 v5, vcc, 0, v5, vcc
	v_add_co_u32_e32 v33, vcc, 8, v4
	v_addc_co_u32_e32 v34, vcc, 0, v5, vcc
	v_add_co_u32_e32 v20, vcc, s22, v2
	v_cmp_gt_i32_e64 s[0:1], s37, v8
	v_mov_b32_e32 v11, 0
	v_not_b32_e32 v21, v8
	v_or_b32_e32 v30, 32, v8
	v_mul_lo_u32 v14, s25, v19
	s_mul_i32 s40, s25, s36
	v_addc_co_u32_e32 v17, vcc, v7, v3, vcc
	s_mov_b64 s[8:9], 0
	v_mov_b32_e32 v35, s33
	s_xor_b64 s[10:11], s[10:11], -1
	s_movk_i32 s22, 0x5f
	s_branch .LBB16_9
.LBB16_7:                               ;   in Loop: Header=BB16_9 Depth=1
	s_or_b64 exec, exec, s[14:15]
.LBB16_8:                               ;   in Loop: Header=BB16_9 Depth=1
	s_or_b64 exec, exec, s[2:3]
	v_mov_b32_e32 v2, s7
	v_add_co_u32_e32 v12, vcc, s6, v12
	v_addc_co_u32_e32 v1, vcc, v1, v2, vcc
	v_add_co_u32_e32 v16, vcc, s6, v16
	v_addc_co_u32_e32 v9, vcc, v9, v2, vcc
	v_add_co_u32_e32 v18, vcc, s6, v18
	v_add_u32_e32 v19, s36, v19
	v_addc_co_u32_e32 v13, vcc, v13, v2, vcc
	v_cmp_le_i32_e32 vcc, s24, v19
	s_or_b64 s[8:9], vcc, s[8:9]
	v_add_co_u32_e32 v20, vcc, s6, v20
	v_add_u32_e32 v14, s40, v14
	v_addc_co_u32_e32 v17, vcc, v17, v2, vcc
	s_andn2_b64 exec, exec, s[8:9]
	s_cbranch_execz .LBB16_48
.LBB16_9:                               ; =>This Loop Header: Depth=1
                                        ;     Child Loop BB16_14 Depth 2
                                        ;     Child Loop BB16_18 Depth 2
	;; [unrolled: 1-line block ×8, first 2 shown]
	v_mul_lo_u32 v2, v19, s25
	v_ashrrev_i32_e32 v3, 31, v2
	v_lshlrev_b64 v[26:27], 1, v[2:3]
	v_mad_u64_u32 v[2:3], s[2:3], v19, s12, 0
	v_add_co_u32_e32 v6, vcc, s31, v26
	v_mov_b32_e32 v4, v3
	v_addc_co_u32_e32 v7, vcc, v35, v27, vcc
	v_mad_u64_u32 v[4:5], s[2:3], v19, s13, v[4:5]
	v_and_b32_e32 v10, 15, v6
	v_ashrrev_i32_e32 v15, 31, v14
	v_mov_b32_e32 v3, v4
	v_cmp_ne_u64_e32 vcc, 0, v[10:11]
	v_lshlrev_b64 v[22:23], 1, v[14:15]
	s_or_b64 s[2:3], s[10:11], vcc
	v_lshlrev_b64 v[24:25], 1, v[2:3]
	s_and_saveexec_b64 s[14:15], s[2:3]
	s_xor_b64 s[14:15], exec, s[14:15]
	s_cbranch_execz .LBB16_24
; %bb.10:                               ;   in Loop: Header=BB16_9 Depth=1
	v_mov_b32_e32 v2, s35
	v_add_co_u32_e32 v15, vcc, s34, v24
	v_addc_co_u32_e32 v36, vcc, v2, v25, vcc
	v_sub_u32_e32 v2, 0, v6
	v_bfe_u32 v2, v2, 1, 3
	v_min_i32_e32 v2, s25, v2
	v_cmp_gt_i32_e32 vcc, v2, v8
	s_and_saveexec_b64 s[2:3], vcc
	s_cbranch_execz .LBB16_12
; %bb.11:                               ;   in Loop: Header=BB16_9 Depth=1
	v_lshlrev_b32_e32 v3, 1, v8
	v_add_co_u32_e32 v4, vcc, v6, v3
	v_addc_co_u32_e32 v5, vcc, 0, v7, vcc
	global_load_ushort v10, v[4:5], off
	v_add_co_u32_e32 v4, vcc, v15, v3
	v_addc_co_u32_e32 v5, vcc, 0, v36, vcc
	s_waitcnt vmcnt(0)
	global_store_short v[4:5], v10, off
.LBB16_12:                              ;   in Loop: Header=BB16_9 Depth=1
	s_or_b64 exec, exec, s[2:3]
	v_sub_u32_e32 v10, s25, v2
	v_ashrrev_i32_e32 v4, 31, v10
	v_lshrrev_b32_e32 v4, 29, v4
	v_add_u32_e32 v4, v10, v4
	v_ashrrev_i32_e32 v3, 31, v2
	v_ashrrev_i32_e32 v37, 3, v4
	v_cmp_gt_i32_e32 vcc, v37, v8
	v_lshlrev_b64 v[28:29], 1, v[2:3]
	s_and_saveexec_b64 s[2:3], vcc
	s_cbranch_execz .LBB16_15
; %bb.13:                               ;   in Loop: Header=BB16_9 Depth=1
	v_add_co_u32_e32 v2, vcc, v12, v28
	v_addc_co_u32_e32 v3, vcc, v1, v29, vcc
	v_add_co_u32_e32 v4, vcc, v28, v22
	v_addc_co_u32_e32 v5, vcc, v29, v23, vcc
	;; [unrolled: 2-line block ×3, first 2 shown]
	s_mov_b64 s[16:17], 0
	v_mov_b32_e32 v38, v8
.LBB16_14:                              ;   Parent Loop BB16_9 Depth=1
                                        ; =>  This Inner Loop Header: Depth=2
	global_load_dwordx4 v[40:43], v[4:5], off offset:-8
	v_add_u32_e32 v38, 32, v38
	v_cmp_ge_i32_e32 vcc, v38, v37
	s_or_b64 s[16:17], vcc, s[16:17]
	s_waitcnt vmcnt(0)
	global_store_dwordx4 v[2:3], v[40:43], off offset:-8
	v_add_co_u32_e32 v2, vcc, 0x200, v2
	v_addc_co_u32_e32 v3, vcc, 0, v3, vcc
	v_add_co_u32_e32 v4, vcc, 0x200, v4
	v_addc_co_u32_e32 v5, vcc, 0, v5, vcc
	s_andn2_b64 exec, exec, s[16:17]
	s_cbranch_execnz .LBB16_14
.LBB16_15:                              ;   in Loop: Header=BB16_9 Depth=1
	s_or_b64 exec, exec, s[2:3]
	v_lshlrev_b32_e32 v3, 3, v37
	v_add_u32_e32 v2, v3, v8
	v_cmp_lt_i32_e32 vcc, v2, v10
	s_and_saveexec_b64 s[16:17], vcc
	s_cbranch_execz .LBB16_23
; %bb.16:                               ;   in Loop: Header=BB16_9 Depth=1
	v_add_u32_e32 v4, v30, v3
	v_max_i32_e32 v4, v4, v10
	v_add_u32_e32 v4, v4, v21
	v_sub_u32_e32 v3, v4, v3
	v_cmp_lt_u32_e32 vcc, s22, v3
	s_mov_b64 s[2:3], -1
	s_and_saveexec_b64 s[18:19], vcc
	s_cbranch_execz .LBB16_20
; %bb.17:                               ;   in Loop: Header=BB16_9 Depth=1
	v_lshrrev_b32_e32 v3, 5, v3
	v_add_co_u32_e32 v38, vcc, v6, v28
	v_add_u32_e32 v37, 1, v3
	v_addc_co_u32_e32 v39, vcc, v7, v29, vcc
	v_add_u32_e32 v5, 0x60, v2
	v_add_u32_e32 v4, 64, v2
	v_add_co_u32_e32 v40, vcc, v15, v28
	v_and_b32_e32 v15, 0xffffffc, v37
	v_add_u32_e32 v3, 32, v2
	v_pk_mov_b32 v[6:7], v[4:5], v[4:5] op_sel:[0,1]
	v_addc_co_u32_e32 v36, vcc, v36, v29, vcc
	s_mov_b64 s[20:21], 0
	v_mov_b32_e32 v41, v15
	v_pk_mov_b32 v[4:5], v[2:3], v[2:3] op_sel:[0,1]
.LBB16_18:                              ;   Parent Loop BB16_9 Depth=1
                                        ; =>  This Inner Loop Header: Depth=2
	v_ashrrev_i32_e32 v49, 31, v4
	v_mov_b32_e32 v48, v4
	v_lshlrev_b64 v[48:49], 1, v[48:49]
	v_ashrrev_i32_e32 v47, 31, v5
	v_mov_b32_e32 v46, v5
	v_add_co_u32_e32 v50, vcc, v38, v48
	v_lshlrev_b64 v[46:47], 1, v[46:47]
	v_addc_co_u32_e32 v51, vcc, v39, v49, vcc
	v_ashrrev_i32_e32 v45, 31, v6
	v_mov_b32_e32 v44, v6
	v_add_co_u32_e32 v52, vcc, v38, v46
	v_lshlrev_b64 v[44:45], 1, v[44:45]
	v_addc_co_u32_e32 v53, vcc, v39, v47, vcc
	;; [unrolled: 5-line block ×3, first 2 shown]
	v_add_co_u32_e32 v56, vcc, v38, v42
	v_addc_co_u32_e32 v57, vcc, v39, v43, vcc
	global_load_ushort v3, v[50:51], off
	global_load_ushort v58, v[52:53], off
	;; [unrolled: 1-line block ×4, first 2 shown]
	v_add_co_u32_e64 v48, s[2:3], v40, v48
	v_addc_co_u32_e64 v49, s[2:3], v36, v49, s[2:3]
	v_add_co_u32_e64 v46, s[2:3], v40, v46
	v_addc_co_u32_e64 v47, s[2:3], v36, v47, s[2:3]
	v_add_u32_e32 v41, -4, v41
	v_add_co_u32_e64 v44, s[2:3], v40, v44
	v_cmp_eq_u32_e32 vcc, 0, v41
	v_addc_co_u32_e64 v45, s[2:3], v36, v45, s[2:3]
	v_add_u32_e32 v7, 0x80, v7
	v_add_u32_e32 v6, 0x80, v6
	;; [unrolled: 1-line block ×4, first 2 shown]
	v_add_co_u32_e64 v42, s[2:3], v40, v42
	s_or_b64 s[20:21], vcc, s[20:21]
	v_addc_co_u32_e64 v43, s[2:3], v36, v43, s[2:3]
	s_waitcnt vmcnt(3)
	global_store_short v[48:49], v3, off
	s_waitcnt vmcnt(3)
	global_store_short v[46:47], v58, off
	;; [unrolled: 2-line block ×4, first 2 shown]
	s_andn2_b64 exec, exec, s[20:21]
	s_cbranch_execnz .LBB16_18
; %bb.19:                               ;   in Loop: Header=BB16_9 Depth=1
	s_or_b64 exec, exec, s[20:21]
	v_cmp_ne_u32_e32 vcc, v37, v15
	v_lshl_add_u32 v2, v15, 5, v2
	s_orn2_b64 s[2:3], vcc, exec
.LBB16_20:                              ;   in Loop: Header=BB16_9 Depth=1
	s_or_b64 exec, exec, s[18:19]
	s_and_b64 exec, exec, s[2:3]
	s_cbranch_execz .LBB16_23
; %bb.21:                               ;   in Loop: Header=BB16_9 Depth=1
	v_ashrrev_i32_e32 v3, 31, v2
	v_lshlrev_b64 v[4:5], 1, v[2:3]
	v_add_co_u32_e32 v3, vcc, v28, v4
	v_addc_co_u32_e32 v7, vcc, v29, v5, vcc
	v_add_co_u32_e32 v4, vcc, v3, v22
	v_addc_co_u32_e32 v5, vcc, v7, v23, vcc
	v_mov_b32_e32 v6, s39
	v_add_co_u32_e32 v4, vcc, s38, v4
	v_addc_co_u32_e32 v5, vcc, v6, v5, vcc
	v_add_co_u32_e32 v6, vcc, v16, v3
	v_addc_co_u32_e32 v7, vcc, v9, v7, vcc
	s_mov_b64 s[2:3], 0
.LBB16_22:                              ;   Parent Loop BB16_9 Depth=1
                                        ; =>  This Inner Loop Header: Depth=2
	global_load_ushort v3, v[4:5], off
	v_add_co_u32_e32 v4, vcc, 64, v4
	v_add_u32_e32 v2, 32, v2
	v_addc_co_u32_e32 v5, vcc, 0, v5, vcc
	v_cmp_ge_i32_e32 vcc, v2, v10
	s_or_b64 s[2:3], vcc, s[2:3]
	s_waitcnt vmcnt(0)
	global_store_short v[6:7], v3, off
	v_add_co_u32_e32 v6, vcc, 64, v6
	v_addc_co_u32_e32 v7, vcc, 0, v7, vcc
	s_andn2_b64 exec, exec, s[2:3]
	s_cbranch_execnz .LBB16_22
.LBB16_23:                              ;   in Loop: Header=BB16_9 Depth=1
	s_or_b64 exec, exec, s[16:17]
.LBB16_24:                              ;   in Loop: Header=BB16_9 Depth=1
	s_andn2_saveexec_b64 s[2:3], s[14:15]
	s_cbranch_execz .LBB16_29
; %bb.25:                               ;   in Loop: Header=BB16_9 Depth=1
	s_and_saveexec_b64 s[14:15], s[0:1]
	s_cbranch_execz .LBB16_28
; %bb.26:                               ;   in Loop: Header=BB16_9 Depth=1
	v_add_co_u32_e32 v2, vcc, v31, v22
	v_addc_co_u32_e32 v3, vcc, v32, v23, vcc
	s_mov_b64 s[16:17], 0
	s_mov_b64 s[18:19], 0
	v_mov_b32_e32 v4, v8
.LBB16_27:                              ;   Parent Loop BB16_9 Depth=1
                                        ; =>  This Inner Loop Header: Depth=2
	v_mov_b32_e32 v5, s19
	v_add_co_u32_e32 v6, vcc, s18, v2
	v_addc_co_u32_e32 v7, vcc, v3, v5, vcc
	global_load_dwordx4 v[36:39], v[6:7], off offset:-8
	v_add_co_u32_e32 v6, vcc, s18, v12
	v_add_u32_e32 v4, 32, v4
	s_add_u32 s18, s18, 0x200
	v_addc_co_u32_e32 v7, vcc, v1, v5, vcc
	s_addc_u32 s19, s19, 0
	v_cmp_le_i32_e32 vcc, s37, v4
	s_or_b64 s[16:17], vcc, s[16:17]
	s_waitcnt vmcnt(0)
	global_store_dwordx4 v[6:7], v[36:39], off offset:-8
	s_andn2_b64 exec, exec, s[16:17]
	s_cbranch_execnz .LBB16_27
.LBB16_28:                              ;   in Loop: Header=BB16_9 Depth=1
	s_or_b64 exec, exec, s[14:15]
.LBB16_29:                              ;   in Loop: Header=BB16_9 Depth=1
	s_or_b64 exec, exec, s[2:3]
	v_mov_b32_e32 v2, s29
	v_add_co_u32_e32 v6, vcc, s26, v26
	v_addc_co_u32_e32 v7, vcc, v2, v27, vcc
	v_and_b32_e32 v10, 15, v6
	v_cmp_ne_u64_e32 vcc, 0, v[10:11]
	s_or_b64 s[2:3], s[10:11], vcc
	s_and_saveexec_b64 s[14:15], s[2:3]
	s_xor_b64 s[14:15], exec, s[14:15]
	s_cbranch_execz .LBB16_44
; %bb.30:                               ;   in Loop: Header=BB16_9 Depth=1
	v_mov_b32_e32 v2, s30
	v_add_co_u32_e32 v15, vcc, s27, v24
	v_addc_co_u32_e32 v26, vcc, v2, v25, vcc
	v_sub_u32_e32 v2, 0, v6
	v_bfe_u32 v2, v2, 1, 3
	v_min_i32_e32 v2, s25, v2
	v_cmp_gt_i32_e32 vcc, v2, v8
	s_and_saveexec_b64 s[2:3], vcc
	s_cbranch_execz .LBB16_32
; %bb.31:                               ;   in Loop: Header=BB16_9 Depth=1
	v_lshlrev_b32_e32 v3, 1, v8
	v_add_co_u32_e32 v4, vcc, v6, v3
	v_addc_co_u32_e32 v5, vcc, 0, v7, vcc
	global_load_ushort v10, v[4:5], off
	v_add_co_u32_e32 v4, vcc, v15, v3
	v_addc_co_u32_e32 v5, vcc, 0, v26, vcc
	s_waitcnt vmcnt(0)
	global_store_short v[4:5], v10, off
.LBB16_32:                              ;   in Loop: Header=BB16_9 Depth=1
	s_or_b64 exec, exec, s[2:3]
	v_sub_u32_e32 v10, s25, v2
	v_ashrrev_i32_e32 v4, 31, v10
	v_lshrrev_b32_e32 v4, 29, v4
	v_add_u32_e32 v4, v10, v4
	v_ashrrev_i32_e32 v3, 31, v2
	v_ashrrev_i32_e32 v27, 3, v4
	v_cmp_gt_i32_e32 vcc, v27, v8
	v_lshlrev_b64 v[24:25], 1, v[2:3]
	s_and_saveexec_b64 s[2:3], vcc
	s_cbranch_execz .LBB16_35
; %bb.33:                               ;   in Loop: Header=BB16_9 Depth=1
	v_add_co_u32_e32 v2, vcc, v18, v24
	v_addc_co_u32_e32 v3, vcc, v13, v25, vcc
	v_add_co_u32_e32 v4, vcc, v24, v22
	v_addc_co_u32_e32 v5, vcc, v25, v23, vcc
	;; [unrolled: 2-line block ×3, first 2 shown]
	s_mov_b64 s[16:17], 0
	v_mov_b32_e32 v28, v8
.LBB16_34:                              ;   Parent Loop BB16_9 Depth=1
                                        ; =>  This Inner Loop Header: Depth=2
	global_load_dwordx4 v[36:39], v[4:5], off offset:-8
	v_add_u32_e32 v28, 32, v28
	v_cmp_ge_i32_e32 vcc, v28, v27
	s_or_b64 s[16:17], vcc, s[16:17]
	s_waitcnt vmcnt(0)
	global_store_dwordx4 v[2:3], v[36:39], off offset:-8
	v_add_co_u32_e32 v2, vcc, 0x200, v2
	v_addc_co_u32_e32 v3, vcc, 0, v3, vcc
	v_add_co_u32_e32 v4, vcc, 0x200, v4
	v_addc_co_u32_e32 v5, vcc, 0, v5, vcc
	s_andn2_b64 exec, exec, s[16:17]
	s_cbranch_execnz .LBB16_34
.LBB16_35:                              ;   in Loop: Header=BB16_9 Depth=1
	s_or_b64 exec, exec, s[2:3]
	v_lshlrev_b32_e32 v3, 3, v27
	v_add_u32_e32 v2, v3, v8
	v_cmp_lt_i32_e32 vcc, v2, v10
	s_and_saveexec_b64 s[16:17], vcc
	s_cbranch_execz .LBB16_43
; %bb.36:                               ;   in Loop: Header=BB16_9 Depth=1
	v_add_u32_e32 v4, v30, v3
	v_max_i32_e32 v4, v4, v10
	v_add_u32_e32 v4, v4, v21
	v_sub_u32_e32 v3, v4, v3
	v_cmp_lt_u32_e32 vcc, s22, v3
	s_mov_b64 s[2:3], -1
	s_and_saveexec_b64 s[18:19], vcc
	s_cbranch_execz .LBB16_40
; %bb.37:                               ;   in Loop: Header=BB16_9 Depth=1
	v_lshrrev_b32_e32 v3, 5, v3
	v_add_co_u32_e32 v28, vcc, v6, v24
	v_add_u32_e32 v27, 1, v3
	v_addc_co_u32_e32 v29, vcc, v7, v25, vcc
	v_add_u32_e32 v5, 0x60, v2
	v_add_u32_e32 v4, 64, v2
	v_add_co_u32_e32 v36, vcc, v15, v24
	v_and_b32_e32 v15, 0xffffffc, v27
	v_add_u32_e32 v3, 32, v2
	v_pk_mov_b32 v[6:7], v[4:5], v[4:5] op_sel:[0,1]
	v_addc_co_u32_e32 v26, vcc, v26, v25, vcc
	s_mov_b64 s[20:21], 0
	v_mov_b32_e32 v37, v15
	v_pk_mov_b32 v[4:5], v[2:3], v[2:3] op_sel:[0,1]
.LBB16_38:                              ;   Parent Loop BB16_9 Depth=1
                                        ; =>  This Inner Loop Header: Depth=2
	v_ashrrev_i32_e32 v45, 31, v4
	v_mov_b32_e32 v44, v4
	v_lshlrev_b64 v[44:45], 1, v[44:45]
	v_ashrrev_i32_e32 v43, 31, v5
	v_mov_b32_e32 v42, v5
	v_add_co_u32_e32 v46, vcc, v28, v44
	v_lshlrev_b64 v[42:43], 1, v[42:43]
	v_addc_co_u32_e32 v47, vcc, v29, v45, vcc
	v_ashrrev_i32_e32 v41, 31, v6
	v_mov_b32_e32 v40, v6
	v_add_co_u32_e32 v48, vcc, v28, v42
	v_lshlrev_b64 v[40:41], 1, v[40:41]
	v_addc_co_u32_e32 v49, vcc, v29, v43, vcc
	;; [unrolled: 5-line block ×3, first 2 shown]
	v_add_co_u32_e32 v52, vcc, v28, v38
	v_addc_co_u32_e32 v53, vcc, v29, v39, vcc
	global_load_ushort v3, v[46:47], off
	global_load_ushort v54, v[48:49], off
	global_load_ushort v55, v[50:51], off
	global_load_ushort v56, v[52:53], off
	v_add_co_u32_e64 v44, s[2:3], v36, v44
	v_addc_co_u32_e64 v45, s[2:3], v26, v45, s[2:3]
	v_add_co_u32_e64 v42, s[2:3], v36, v42
	v_addc_co_u32_e64 v43, s[2:3], v26, v43, s[2:3]
	v_add_u32_e32 v37, -4, v37
	v_add_co_u32_e64 v40, s[2:3], v36, v40
	v_cmp_eq_u32_e32 vcc, 0, v37
	v_addc_co_u32_e64 v41, s[2:3], v26, v41, s[2:3]
	v_add_u32_e32 v7, 0x80, v7
	v_add_u32_e32 v6, 0x80, v6
	;; [unrolled: 1-line block ×4, first 2 shown]
	v_add_co_u32_e64 v38, s[2:3], v36, v38
	s_or_b64 s[20:21], vcc, s[20:21]
	v_addc_co_u32_e64 v39, s[2:3], v26, v39, s[2:3]
	s_waitcnt vmcnt(3)
	global_store_short v[44:45], v3, off
	s_waitcnt vmcnt(3)
	global_store_short v[42:43], v54, off
	;; [unrolled: 2-line block ×4, first 2 shown]
	s_andn2_b64 exec, exec, s[20:21]
	s_cbranch_execnz .LBB16_38
; %bb.39:                               ;   in Loop: Header=BB16_9 Depth=1
	s_or_b64 exec, exec, s[20:21]
	v_cmp_ne_u32_e32 vcc, v27, v15
	v_lshl_add_u32 v2, v15, 5, v2
	s_orn2_b64 s[2:3], vcc, exec
.LBB16_40:                              ;   in Loop: Header=BB16_9 Depth=1
	s_or_b64 exec, exec, s[18:19]
	s_and_b64 exec, exec, s[2:3]
	s_cbranch_execz .LBB16_43
; %bb.41:                               ;   in Loop: Header=BB16_9 Depth=1
	v_ashrrev_i32_e32 v3, 31, v2
	v_lshlrev_b64 v[4:5], 1, v[2:3]
	v_add_co_u32_e32 v3, vcc, v24, v4
	v_addc_co_u32_e32 v7, vcc, v25, v5, vcc
	v_add_co_u32_e32 v4, vcc, v3, v22
	v_addc_co_u32_e32 v5, vcc, v7, v23, vcc
	v_mov_b32_e32 v6, s41
	v_add_co_u32_e32 v4, vcc, s23, v4
	v_addc_co_u32_e32 v5, vcc, v6, v5, vcc
	v_add_co_u32_e32 v6, vcc, v20, v3
	v_addc_co_u32_e32 v7, vcc, v17, v7, vcc
	s_mov_b64 s[2:3], 0
.LBB16_42:                              ;   Parent Loop BB16_9 Depth=1
                                        ; =>  This Inner Loop Header: Depth=2
	global_load_ushort v3, v[4:5], off
	v_add_co_u32_e32 v4, vcc, 64, v4
	v_add_u32_e32 v2, 32, v2
	v_addc_co_u32_e32 v5, vcc, 0, v5, vcc
	v_cmp_ge_i32_e32 vcc, v2, v10
	s_or_b64 s[2:3], vcc, s[2:3]
	s_waitcnt vmcnt(0)
	global_store_short v[6:7], v3, off
	v_add_co_u32_e32 v6, vcc, 64, v6
	v_addc_co_u32_e32 v7, vcc, 0, v7, vcc
	s_andn2_b64 exec, exec, s[2:3]
	s_cbranch_execnz .LBB16_42
.LBB16_43:                              ;   in Loop: Header=BB16_9 Depth=1
	s_or_b64 exec, exec, s[16:17]
                                        ; implicit-def: $vgpr22_vgpr23
.LBB16_44:                              ;   in Loop: Header=BB16_9 Depth=1
	s_andn2_saveexec_b64 s[2:3], s[14:15]
	s_cbranch_execz .LBB16_8
; %bb.45:                               ;   in Loop: Header=BB16_9 Depth=1
	s_and_saveexec_b64 s[14:15], s[0:1]
	s_cbranch_execz .LBB16_7
; %bb.46:                               ;   in Loop: Header=BB16_9 Depth=1
	v_add_co_u32_e32 v2, vcc, v33, v22
	v_addc_co_u32_e32 v3, vcc, v34, v23, vcc
	s_mov_b64 s[16:17], 0
	s_mov_b64 s[18:19], 0
	v_mov_b32_e32 v4, v8
.LBB16_47:                              ;   Parent Loop BB16_9 Depth=1
                                        ; =>  This Inner Loop Header: Depth=2
	v_mov_b32_e32 v5, s19
	v_add_co_u32_e32 v6, vcc, s18, v2
	v_addc_co_u32_e32 v7, vcc, v3, v5, vcc
	global_load_dwordx4 v[22:25], v[6:7], off offset:-8
	v_add_co_u32_e32 v6, vcc, s18, v18
	v_add_u32_e32 v4, 32, v4
	s_add_u32 s18, s18, 0x200
	v_addc_co_u32_e32 v7, vcc, v13, v5, vcc
	s_addc_u32 s19, s19, 0
	v_cmp_le_i32_e32 vcc, s37, v4
	s_or_b64 s[16:17], vcc, s[16:17]
	s_waitcnt vmcnt(0)
	global_store_dwordx4 v[6:7], v[22:25], off offset:-8
	s_andn2_b64 exec, exec, s[16:17]
	s_cbranch_execnz .LBB16_47
	s_branch .LBB16_7
.LBB16_48:
	s_or_b64 exec, exec, s[4:5]
	s_mov_b64 s[0:1], 0
.LBB16_49:
	s_andn2_b64 vcc, exec, s[0:1]
	s_cbranch_vccnz .LBB16_91
; %bb.50:
	s_and_b32 s0, s31, 15
	s_mov_b32 s1, 0
	s_mul_i32 s12, s25, s24
	s_cmp_lg_u64 s[0:1], 0
	s_cselect_b64 s[0:1], -1, 0
	s_and_b32 s4, s12, 7
	s_cmp_eq_u32 s4, 0
	s_cselect_b64 s[2:3], -1, 0
	s_cmp_lg_u32 s4, 0
	s_cselect_b64 s[4:5], -1, 0
	s_or_b64 s[4:5], s[0:1], s[4:5]
	s_mov_b64 s[0:1], -1
	s_and_b64 vcc, exec, s[4:5]
	s_cbranch_vccz .LBB16_66
; %bb.51:
	s_sub_i32 s0, 0, s31
	s_bfe_u32 s0, s0, 0x30001
	s_min_i32 s4, s0, s12
	v_cmp_gt_i32_e32 vcc, s4, v0
	s_and_saveexec_b64 s[0:1], vcc
	s_cbranch_execz .LBB16_54
; %bb.52:
	s_mov_b32 s8, 0
	v_lshlrev_b32_e32 v2, 1, v0
	v_mov_b32_e32 v1, 0
	s_lshl_b32 s5, s28, 1
	s_mov_b64 s[6:7], 0
	v_mov_b32_e32 v3, s35
	v_mov_b32_e32 v4, s33
	;; [unrolled: 1-line block ×4, first 2 shown]
.LBB16_53:                              ; =>This Inner Loop Header: Depth=1
	v_add_co_u32_e32 v8, vcc, s31, v2
	v_addc_co_u32_e32 v9, vcc, v4, v1, vcc
	global_load_ushort v7, v[8:9], off
	v_add_co_u32_e32 v8, vcc, s34, v2
	v_addc_co_u32_e32 v9, vcc, v3, v1, vcc
	v_add_co_u32_e32 v2, vcc, s5, v2
	v_add_u32_e32 v6, s28, v6
	v_addc_co_u32_e32 v1, vcc, v1, v5, vcc
	v_cmp_le_i32_e32 vcc, s4, v6
	s_or_b64 s[6:7], vcc, s[6:7]
	s_waitcnt vmcnt(0)
	global_store_short v[8:9], v7, off
	s_andn2_b64 exec, exec, s[6:7]
	s_cbranch_execnz .LBB16_53
.LBB16_54:
	s_or_b64 exec, exec, s[0:1]
	s_sub_i32 s13, s12, s4
	s_ashr_i32 s0, s13, 31
	s_lshr_b32 s0, s0, 29
	s_add_i32 s0, s13, s0
	s_ashr_i32 s8, s0, 3
	s_ashr_i32 s5, s4, 31
	v_cmp_gt_i32_e32 vcc, s8, v0
	s_and_saveexec_b64 s[0:1], vcc
	s_cbranch_execz .LBB16_57
; %bb.55:
	v_lshlrev_b32_e32 v1, 4, v0
	s_lshl_b64 s[6:7], s[4:5], 1
	v_mov_b32_e32 v2, s7
	v_add_co_u32_e32 v1, vcc, s6, v1
	v_addc_co_u32_e32 v3, vcc, 0, v2, vcc
	s_mov_b32 s10, 0
	v_add_co_u32_e32 v2, vcc, 8, v1
	v_addc_co_u32_e32 v1, vcc, 0, v3, vcc
	s_lshl_b32 s9, s28, 4
	s_mov_b64 s[6:7], 0
	v_mov_b32_e32 v3, s33
	v_mov_b32_e32 v4, s35
	;; [unrolled: 1-line block ×4, first 2 shown]
.LBB16_56:                              ; =>This Inner Loop Header: Depth=1
	v_add_co_u32_e32 v8, vcc, s31, v2
	v_addc_co_u32_e32 v9, vcc, v3, v1, vcc
	global_load_dwordx4 v[8:11], v[8:9], off offset:-8
	v_add_co_u32_e32 v12, vcc, s34, v2
	v_addc_co_u32_e32 v13, vcc, v4, v1, vcc
	v_add_co_u32_e32 v2, vcc, s9, v2
	v_add_u32_e32 v6, s28, v6
	v_addc_co_u32_e32 v1, vcc, v1, v5, vcc
	v_cmp_le_i32_e32 vcc, s8, v6
	s_or_b64 s[6:7], vcc, s[6:7]
	s_waitcnt vmcnt(0)
	global_store_dwordx4 v[12:13], v[8:11], off offset:-8
	s_andn2_b64 exec, exec, s[6:7]
	s_cbranch_execnz .LBB16_56
.LBB16_57:
	s_or_b64 exec, exec, s[0:1]
	v_lshl_add_u32 v2, s8, 3, v0
	v_cmp_gt_i32_e32 vcc, s13, v2
	s_and_saveexec_b64 s[6:7], vcc
	s_cbranch_execz .LBB16_65
; %bb.58:
	v_cvt_f32_u32_e32 v1, s28
	v_add_u32_e32 v3, s28, v2
	v_mov_b32_e32 v4, s28
	s_sub_i32 s8, 0, s28
	v_rcp_iflag_f32_e32 v1, v1
	v_cmp_gt_i32_e32 vcc, s13, v3
	v_max_i32_e32 v5, s13, v3
	v_addc_co_u32_e64 v3, s[0:1], v2, v4, vcc
	v_mul_f32_e32 v1, 0x4f7ffffe, v1
	v_cvt_u32_f32_e32 v1, v1
	v_sub_u32_e32 v3, v5, v3
	s_cmp_eq_u32 s28, 1
	v_mul_lo_u32 v4, s8, v1
	v_mul_hi_u32 v4, v1, v4
	v_add_u32_e32 v1, v1, v4
	v_mul_hi_u32 v1, v3, v1
	v_mul_lo_u32 v4, v1, s28
	v_sub_u32_e32 v3, v3, v4
	v_add_u32_e32 v5, 1, v1
	v_cmp_le_u32_e64 s[0:1], s28, v3
	v_subrev_u32_e32 v4, s28, v3
	v_cndmask_b32_e64 v1, v1, v5, s[0:1]
	v_cndmask_b32_e64 v3, v3, v4, s[0:1]
	v_add_u32_e32 v4, 1, v1
	v_cmp_le_u32_e64 s[0:1], s28, v3
	v_cndmask_b32_e64 v1, v1, v4, s[0:1]
	v_addc_co_u32_e32 v1, vcc, 1, v1, vcc
	v_cmp_lt_u32_e32 vcc, 31, v1
	s_cselect_b64 s[0:1], -1, 0
	s_and_b64 s[10:11], vcc, s[0:1]
	s_mov_b64 s[0:1], -1
	s_and_saveexec_b64 s[8:9], s[10:11]
	s_cbranch_execz .LBB16_62
; %bb.59:
	s_lshl_b64 s[0:1], s[4:5], 1
	s_add_u32 s14, s31, s0
	s_addc_u32 s16, s33, s1
	s_add_u32 s15, s34, s0
	s_addc_u32 s0, s35, s1
	v_and_b32_e32 v3, 0xffffffe0, v1
	s_mov_b64 s[10:11], 0
	v_mov_b32_e32 v6, s0
	v_mov_b32_e32 v7, s16
	;; [unrolled: 1-line block ×4, first 2 shown]
.LBB16_60:                              ; =>This Inner Loop Header: Depth=1
	v_ashrrev_i32_e32 v5, 31, v4
	v_lshlrev_b64 v[26:27], 1, v[4:5]
	v_add_co_u32_e32 v28, vcc, s14, v26
	v_addc_co_u32_e32 v29, vcc, v7, v27, vcc
	global_load_dwordx4 v[10:13], v[28:29], off
	global_load_dwordx4 v[14:17], v[28:29], off offset:16
	global_load_dwordx4 v[18:21], v[28:29], off offset:32
	;; [unrolled: 1-line block ×3, first 2 shown]
	v_subrev_u32_e32 v8, 32, v8
	v_cmp_eq_u32_e32 vcc, 0, v8
	v_add_co_u32_e64 v26, s[0:1], s15, v26
	v_addc_co_u32_e64 v27, s[0:1], v6, v27, s[0:1]
	s_or_b64 s[10:11], vcc, s[10:11]
	v_add_u32_e32 v4, 32, v4
	s_waitcnt vmcnt(3)
	global_store_dwordx4 v[26:27], v[10:13], off
	s_waitcnt vmcnt(3)
	global_store_dwordx4 v[26:27], v[14:17], off offset:16
	s_waitcnt vmcnt(3)
	global_store_dwordx4 v[26:27], v[18:21], off offset:32
	;; [unrolled: 2-line block ×3, first 2 shown]
	s_andn2_b64 exec, exec, s[10:11]
	s_cbranch_execnz .LBB16_60
; %bb.61:
	s_or_b64 exec, exec, s[10:11]
	v_cmp_ne_u32_e32 vcc, v1, v3
	v_add_u32_e32 v2, v2, v3
	s_orn2_b64 s[0:1], vcc, exec
.LBB16_62:
	s_or_b64 exec, exec, s[8:9]
	s_and_b64 exec, exec, s[0:1]
	s_cbranch_execz .LBB16_65
; %bb.63:
	v_ashrrev_i32_e32 v3, 31, v2
	s_lshl_b64 s[0:1], s[4:5], 1
	v_lshlrev_b64 v[4:5], 1, v[2:3]
	v_mov_b32_e32 v1, s1
	v_add_co_u32_e32 v4, vcc, s0, v4
	s_mov_b32 s5, 0
	v_addc_co_u32_e32 v1, vcc, v1, v5, vcc
	s_lshl_b32 s4, s28, 1
	s_mov_b64 s[0:1], 0
	v_mov_b32_e32 v3, s35
	v_mov_b32_e32 v5, s33
	;; [unrolled: 1-line block ×3, first 2 shown]
.LBB16_64:                              ; =>This Inner Loop Header: Depth=1
	v_add_co_u32_e32 v8, vcc, s31, v4
	v_addc_co_u32_e32 v9, vcc, v5, v1, vcc
	global_load_ushort v7, v[8:9], off
	v_add_co_u32_e32 v8, vcc, s34, v4
	v_addc_co_u32_e32 v9, vcc, v3, v1, vcc
	v_add_co_u32_e32 v4, vcc, s4, v4
	v_add_u32_e32 v2, s28, v2
	v_addc_co_u32_e32 v1, vcc, v1, v6, vcc
	v_cmp_le_i32_e32 vcc, s13, v2
	s_or_b64 s[0:1], vcc, s[0:1]
	s_waitcnt vmcnt(0)
	global_store_short v[8:9], v7, off
	s_andn2_b64 exec, exec, s[0:1]
	s_cbranch_execnz .LBB16_64
.LBB16_65:
	s_or_b64 exec, exec, s[6:7]
	s_mov_b64 s[0:1], 0
.LBB16_66:
	s_and_b64 vcc, exec, s[0:1]
	s_cbranch_vccz .LBB16_71
; %bb.67:
	s_ashr_i32 s6, s12, 3
	v_cmp_gt_i32_e32 vcc, s6, v0
	s_and_saveexec_b64 s[0:1], vcc
	s_cbranch_execz .LBB16_70
; %bb.68:
	s_mov_b32 s8, 0
	v_lshl_or_b32 v2, v0, 4, 8
	v_mov_b32_e32 v1, 0
	s_lshl_b32 s7, s28, 4
	s_mov_b64 s[4:5], 0
	v_mov_b32_e32 v3, s33
	v_mov_b32_e32 v4, s35
	;; [unrolled: 1-line block ×4, first 2 shown]
.LBB16_69:                              ; =>This Inner Loop Header: Depth=1
	v_add_co_u32_e32 v8, vcc, s31, v2
	v_addc_co_u32_e32 v9, vcc, v3, v1, vcc
	global_load_dwordx4 v[8:11], v[8:9], off offset:-8
	v_add_co_u32_e32 v12, vcc, s34, v2
	v_addc_co_u32_e32 v13, vcc, v4, v1, vcc
	v_add_co_u32_e32 v2, vcc, s7, v2
	v_add_u32_e32 v6, s28, v6
	v_addc_co_u32_e32 v1, vcc, v1, v5, vcc
	v_cmp_le_i32_e32 vcc, s6, v6
	s_or_b64 s[4:5], vcc, s[4:5]
	s_waitcnt vmcnt(0)
	global_store_dwordx4 v[12:13], v[8:11], off offset:-8
	s_andn2_b64 exec, exec, s[4:5]
	s_cbranch_execnz .LBB16_69
.LBB16_70:
	s_or_b64 exec, exec, s[0:1]
.LBB16_71:
	s_and_b32 s0, s26, 15
	s_mov_b32 s1, 0
	s_cmp_lg_u64 s[0:1], 0
	s_cselect_b64 s[4:5], -1, 0
	s_xor_b64 s[2:3], s[2:3], -1
	s_or_b64 s[2:3], s[2:3], s[4:5]
	s_mov_b64 s[0:1], -1
	s_and_b64 vcc, exec, s[2:3]
	s_cbranch_vccz .LBB16_87
; %bb.72:
	s_sub_i32 s0, 0, s26
	s_bfe_u32 s0, s0, 0x30001
	s_min_i32 s2, s0, s12
	v_cmp_gt_i32_e32 vcc, s2, v0
	s_and_saveexec_b64 s[0:1], vcc
	s_cbranch_execz .LBB16_75
; %bb.73:
	s_mov_b32 s6, 0
	v_lshlrev_b32_e32 v2, 1, v0
	v_mov_b32_e32 v1, 0
	s_lshl_b32 s3, s28, 1
	s_mov_b64 s[4:5], 0
	v_mov_b32_e32 v3, s30
	v_mov_b32_e32 v4, s29
	;; [unrolled: 1-line block ×4, first 2 shown]
.LBB16_74:                              ; =>This Inner Loop Header: Depth=1
	v_add_co_u32_e32 v8, vcc, s26, v2
	v_addc_co_u32_e32 v9, vcc, v4, v1, vcc
	global_load_ushort v7, v[8:9], off
	v_add_co_u32_e32 v8, vcc, s27, v2
	v_addc_co_u32_e32 v9, vcc, v3, v1, vcc
	v_add_co_u32_e32 v2, vcc, s3, v2
	v_add_u32_e32 v6, s28, v6
	v_addc_co_u32_e32 v1, vcc, v1, v5, vcc
	v_cmp_le_i32_e32 vcc, s2, v6
	s_or_b64 s[4:5], vcc, s[4:5]
	s_waitcnt vmcnt(0)
	global_store_short v[8:9], v7, off
	s_andn2_b64 exec, exec, s[4:5]
	s_cbranch_execnz .LBB16_74
.LBB16_75:
	s_or_b64 exec, exec, s[0:1]
	s_sub_i32 s10, s12, s2
	s_ashr_i32 s0, s10, 31
	s_lshr_b32 s0, s0, 29
	s_add_i32 s0, s10, s0
	s_ashr_i32 s6, s0, 3
	s_ashr_i32 s3, s2, 31
	v_cmp_gt_i32_e32 vcc, s6, v0
	s_and_saveexec_b64 s[0:1], vcc
	s_cbranch_execz .LBB16_78
; %bb.76:
	v_lshlrev_b32_e32 v1, 4, v0
	s_lshl_b64 s[4:5], s[2:3], 1
	v_mov_b32_e32 v2, s5
	v_add_co_u32_e32 v1, vcc, s4, v1
	v_addc_co_u32_e32 v3, vcc, 0, v2, vcc
	s_mov_b32 s8, 0
	v_add_co_u32_e32 v2, vcc, 8, v1
	v_addc_co_u32_e32 v1, vcc, 0, v3, vcc
	s_lshl_b32 s7, s28, 4
	s_mov_b64 s[4:5], 0
	v_mov_b32_e32 v3, s29
	v_mov_b32_e32 v4, s30
	;; [unrolled: 1-line block ×4, first 2 shown]
.LBB16_77:                              ; =>This Inner Loop Header: Depth=1
	v_add_co_u32_e32 v8, vcc, s26, v2
	v_addc_co_u32_e32 v9, vcc, v3, v1, vcc
	global_load_dwordx4 v[8:11], v[8:9], off offset:-8
	v_add_co_u32_e32 v12, vcc, s27, v2
	v_addc_co_u32_e32 v13, vcc, v4, v1, vcc
	v_add_co_u32_e32 v2, vcc, s7, v2
	v_add_u32_e32 v6, s28, v6
	v_addc_co_u32_e32 v1, vcc, v1, v5, vcc
	v_cmp_le_i32_e32 vcc, s6, v6
	s_or_b64 s[4:5], vcc, s[4:5]
	s_waitcnt vmcnt(0)
	global_store_dwordx4 v[12:13], v[8:11], off offset:-8
	s_andn2_b64 exec, exec, s[4:5]
	s_cbranch_execnz .LBB16_77
.LBB16_78:
	s_or_b64 exec, exec, s[0:1]
	v_lshl_add_u32 v2, s6, 3, v0
	v_cmp_gt_i32_e32 vcc, s10, v2
	s_and_saveexec_b64 s[4:5], vcc
	s_cbranch_execz .LBB16_86
; %bb.79:
	v_cvt_f32_u32_e32 v1, s28
	v_add_u32_e32 v3, s28, v2
	v_mov_b32_e32 v4, s28
	s_sub_i32 s6, 0, s28
	v_rcp_iflag_f32_e32 v1, v1
	v_cmp_gt_i32_e32 vcc, s10, v3
	v_max_i32_e32 v5, s10, v3
	v_addc_co_u32_e64 v3, s[0:1], v2, v4, vcc
	v_mul_f32_e32 v1, 0x4f7ffffe, v1
	v_cvt_u32_f32_e32 v1, v1
	v_sub_u32_e32 v3, v5, v3
	s_cmp_eq_u32 s28, 1
	v_mul_lo_u32 v4, s6, v1
	v_mul_hi_u32 v4, v1, v4
	v_add_u32_e32 v1, v1, v4
	v_mul_hi_u32 v1, v3, v1
	v_mul_lo_u32 v4, v1, s28
	v_sub_u32_e32 v3, v3, v4
	v_add_u32_e32 v5, 1, v1
	v_cmp_le_u32_e64 s[0:1], s28, v3
	v_subrev_u32_e32 v4, s28, v3
	v_cndmask_b32_e64 v1, v1, v5, s[0:1]
	v_cndmask_b32_e64 v3, v3, v4, s[0:1]
	v_add_u32_e32 v4, 1, v1
	v_cmp_le_u32_e64 s[0:1], s28, v3
	v_cndmask_b32_e64 v1, v1, v4, s[0:1]
	v_addc_co_u32_e32 v1, vcc, 1, v1, vcc
	v_cmp_lt_u32_e32 vcc, 31, v1
	s_cselect_b64 s[0:1], -1, 0
	s_and_b64 s[8:9], vcc, s[0:1]
	s_mov_b64 s[0:1], -1
	s_and_saveexec_b64 s[6:7], s[8:9]
	s_cbranch_execz .LBB16_83
; %bb.80:
	s_lshl_b64 s[0:1], s[2:3], 1
	s_add_u32 s11, s26, s0
	s_addc_u32 s14, s29, s1
	s_add_u32 s13, s27, s0
	s_addc_u32 s0, s30, s1
	v_and_b32_e32 v3, 0xffffffe0, v1
	s_mov_b64 s[8:9], 0
	v_mov_b32_e32 v6, s0
	v_mov_b32_e32 v7, s14
	;; [unrolled: 1-line block ×4, first 2 shown]
.LBB16_81:                              ; =>This Inner Loop Header: Depth=1
	v_ashrrev_i32_e32 v5, 31, v4
	v_lshlrev_b64 v[26:27], 1, v[4:5]
	v_add_co_u32_e32 v28, vcc, s11, v26
	v_addc_co_u32_e32 v29, vcc, v7, v27, vcc
	global_load_dwordx4 v[10:13], v[28:29], off
	global_load_dwordx4 v[14:17], v[28:29], off offset:16
	global_load_dwordx4 v[18:21], v[28:29], off offset:32
	;; [unrolled: 1-line block ×3, first 2 shown]
	v_subrev_u32_e32 v8, 32, v8
	v_cmp_eq_u32_e32 vcc, 0, v8
	v_add_co_u32_e64 v26, s[0:1], s13, v26
	v_addc_co_u32_e64 v27, s[0:1], v6, v27, s[0:1]
	s_or_b64 s[8:9], vcc, s[8:9]
	v_add_u32_e32 v4, 32, v4
	s_waitcnt vmcnt(3)
	global_store_dwordx4 v[26:27], v[10:13], off
	s_waitcnt vmcnt(3)
	global_store_dwordx4 v[26:27], v[14:17], off offset:16
	s_waitcnt vmcnt(3)
	global_store_dwordx4 v[26:27], v[18:21], off offset:32
	;; [unrolled: 2-line block ×3, first 2 shown]
	s_andn2_b64 exec, exec, s[8:9]
	s_cbranch_execnz .LBB16_81
; %bb.82:
	s_or_b64 exec, exec, s[8:9]
	v_cmp_ne_u32_e32 vcc, v1, v3
	v_add_u32_e32 v2, v2, v3
	s_orn2_b64 s[0:1], vcc, exec
.LBB16_83:
	s_or_b64 exec, exec, s[6:7]
	s_and_b64 exec, exec, s[0:1]
	s_cbranch_execz .LBB16_86
; %bb.84:
	v_ashrrev_i32_e32 v3, 31, v2
	s_lshl_b64 s[0:1], s[2:3], 1
	v_lshlrev_b64 v[4:5], 1, v[2:3]
	v_mov_b32_e32 v1, s1
	v_add_co_u32_e32 v4, vcc, s0, v4
	s_mov_b32 s3, 0
	v_addc_co_u32_e32 v1, vcc, v1, v5, vcc
	s_lshl_b32 s2, s28, 1
	s_mov_b64 s[0:1], 0
	v_mov_b32_e32 v3, s30
	v_mov_b32_e32 v5, s29
	;; [unrolled: 1-line block ×3, first 2 shown]
.LBB16_85:                              ; =>This Inner Loop Header: Depth=1
	v_add_co_u32_e32 v8, vcc, s26, v4
	v_addc_co_u32_e32 v9, vcc, v5, v1, vcc
	global_load_ushort v7, v[8:9], off
	v_add_co_u32_e32 v8, vcc, s27, v4
	v_addc_co_u32_e32 v9, vcc, v3, v1, vcc
	v_add_co_u32_e32 v4, vcc, s2, v4
	v_add_u32_e32 v2, s28, v2
	v_addc_co_u32_e32 v1, vcc, v1, v6, vcc
	v_cmp_le_i32_e32 vcc, s10, v2
	s_or_b64 s[0:1], vcc, s[0:1]
	s_waitcnt vmcnt(0)
	global_store_short v[8:9], v7, off
	s_andn2_b64 exec, exec, s[0:1]
	s_cbranch_execnz .LBB16_85
.LBB16_86:
	s_or_b64 exec, exec, s[4:5]
	s_mov_b64 s[0:1], 0
.LBB16_87:
	s_and_b64 vcc, exec, s[0:1]
	s_cbranch_vccz .LBB16_91
; %bb.88:
	s_ashr_i32 s2, s12, 3
	v_cmp_gt_i32_e32 vcc, s2, v0
	s_and_saveexec_b64 s[0:1], vcc
	s_cbranch_execz .LBB16_91
; %bb.89:
	s_mov_b32 s4, 0
	v_lshl_or_b32 v2, v0, 4, 8
	v_mov_b32_e32 v1, 0
	s_lshl_b32 s3, s28, 4
	s_mov_b64 s[0:1], 0
	v_mov_b32_e32 v3, s29
	v_mov_b32_e32 v4, s30
	;; [unrolled: 1-line block ×3, first 2 shown]
.LBB16_90:                              ; =>This Inner Loop Header: Depth=1
	v_add_co_u32_e32 v6, vcc, s26, v2
	v_addc_co_u32_e32 v7, vcc, v3, v1, vcc
	global_load_dwordx4 v[6:9], v[6:7], off offset:-8
	v_add_co_u32_e32 v10, vcc, s27, v2
	v_addc_co_u32_e32 v11, vcc, v4, v1, vcc
	v_add_co_u32_e32 v2, vcc, s3, v2
	v_add_u32_e32 v0, s28, v0
	v_addc_co_u32_e32 v1, vcc, v1, v5, vcc
	v_cmp_le_i32_e32 vcc, s2, v0
	s_or_b64 s[0:1], vcc, s[0:1]
	s_waitcnt vmcnt(0)
	global_store_dwordx4 v[10:11], v[6:9], off offset:-8
	s_andn2_b64 exec, exec, s[0:1]
	s_cbranch_execnz .LBB16_90
.LBB16_91:
	s_endpgm
.LBB16_92:
                                        ; implicit-def: $sgpr0_sgpr1
	s_branch .LBB16_3
	.section	.rodata,"a",@progbits
	.p2align	6, 0x0
	.amdhsa_kernel _ZN4vllm30reshape_and_cache_flash_kernelI14__hip_bfloat16S1_LNS_18Fp8KVCacheDataTypeE0EEEvPKT_S5_PT0_S7_PKlllllliiiPKfSB_
		.amdhsa_group_segment_fixed_size 0
		.amdhsa_private_segment_fixed_size 0
		.amdhsa_kernarg_size 368
		.amdhsa_user_sgpr_count 6
		.amdhsa_user_sgpr_private_segment_buffer 1
		.amdhsa_user_sgpr_dispatch_ptr 0
		.amdhsa_user_sgpr_queue_ptr 0
		.amdhsa_user_sgpr_kernarg_segment_ptr 1
		.amdhsa_user_sgpr_dispatch_id 0
		.amdhsa_user_sgpr_flat_scratch_init 0
		.amdhsa_user_sgpr_kernarg_preload_length 0
		.amdhsa_user_sgpr_kernarg_preload_offset 0
		.amdhsa_user_sgpr_private_segment_size 0
		.amdhsa_uses_dynamic_stack 0
		.amdhsa_system_sgpr_private_segment_wavefront_offset 0
		.amdhsa_system_sgpr_workgroup_id_x 1
		.amdhsa_system_sgpr_workgroup_id_y 0
		.amdhsa_system_sgpr_workgroup_id_z 0
		.amdhsa_system_sgpr_workgroup_info 0
		.amdhsa_system_vgpr_workitem_id 0
		.amdhsa_next_free_vgpr 61
		.amdhsa_next_free_sgpr 42
		.amdhsa_accum_offset 64
		.amdhsa_reserve_vcc 1
		.amdhsa_reserve_flat_scratch 0
		.amdhsa_float_round_mode_32 0
		.amdhsa_float_round_mode_16_64 0
		.amdhsa_float_denorm_mode_32 3
		.amdhsa_float_denorm_mode_16_64 3
		.amdhsa_dx10_clamp 1
		.amdhsa_ieee_mode 1
		.amdhsa_fp16_overflow 0
		.amdhsa_tg_split 0
		.amdhsa_exception_fp_ieee_invalid_op 0
		.amdhsa_exception_fp_denorm_src 0
		.amdhsa_exception_fp_ieee_div_zero 0
		.amdhsa_exception_fp_ieee_overflow 0
		.amdhsa_exception_fp_ieee_underflow 0
		.amdhsa_exception_fp_ieee_inexact 0
		.amdhsa_exception_int_div_zero 0
	.end_amdhsa_kernel
	.section	.text._ZN4vllm30reshape_and_cache_flash_kernelI14__hip_bfloat16S1_LNS_18Fp8KVCacheDataTypeE0EEEvPKT_S5_PT0_S7_PKlllllliiiPKfSB_,"axG",@progbits,_ZN4vllm30reshape_and_cache_flash_kernelI14__hip_bfloat16S1_LNS_18Fp8KVCacheDataTypeE0EEEvPKT_S5_PT0_S7_PKlllllliiiPKfSB_,comdat
.Lfunc_end16:
	.size	_ZN4vllm30reshape_and_cache_flash_kernelI14__hip_bfloat16S1_LNS_18Fp8KVCacheDataTypeE0EEEvPKT_S5_PT0_S7_PKlllllliiiPKfSB_, .Lfunc_end16-_ZN4vllm30reshape_and_cache_flash_kernelI14__hip_bfloat16S1_LNS_18Fp8KVCacheDataTypeE0EEEvPKT_S5_PT0_S7_PKlllllliiiPKfSB_
                                        ; -- End function
	.section	.AMDGPU.csdata,"",@progbits
; Kernel info:
; codeLenInByte = 5284
; NumSgprs: 46
; NumVgprs: 61
; NumAgprs: 0
; TotalNumVgprs: 61
; ScratchSize: 0
; MemoryBound: 0
; FloatMode: 240
; IeeeMode: 1
; LDSByteSize: 0 bytes/workgroup (compile time only)
; SGPRBlocks: 5
; VGPRBlocks: 7
; NumSGPRsForWavesPerEU: 46
; NumVGPRsForWavesPerEU: 61
; AccumOffset: 64
; Occupancy: 8
; WaveLimiterHint : 0
; COMPUTE_PGM_RSRC2:SCRATCH_EN: 0
; COMPUTE_PGM_RSRC2:USER_SGPR: 6
; COMPUTE_PGM_RSRC2:TRAP_HANDLER: 0
; COMPUTE_PGM_RSRC2:TGID_X_EN: 1
; COMPUTE_PGM_RSRC2:TGID_Y_EN: 0
; COMPUTE_PGM_RSRC2:TGID_Z_EN: 0
; COMPUTE_PGM_RSRC2:TIDIG_COMP_CNT: 0
; COMPUTE_PGM_RSRC3_GFX90A:ACCUM_OFFSET: 15
; COMPUTE_PGM_RSRC3_GFX90A:TG_SPLIT: 0
	.section	.text._ZN4vllm30reshape_and_cache_flash_kernelIfhLNS_18Fp8KVCacheDataTypeE1EEEvPKT_S4_PT0_S6_PKlllllliiiPKfSA_,"axG",@progbits,_ZN4vllm30reshape_and_cache_flash_kernelIfhLNS_18Fp8KVCacheDataTypeE1EEEvPKT_S4_PT0_S6_PKlllllliiiPKfSA_,comdat
	.protected	_ZN4vllm30reshape_and_cache_flash_kernelIfhLNS_18Fp8KVCacheDataTypeE1EEEvPKT_S4_PT0_S6_PKlllllliiiPKfSA_ ; -- Begin function _ZN4vllm30reshape_and_cache_flash_kernelIfhLNS_18Fp8KVCacheDataTypeE1EEEvPKT_S4_PT0_S6_PKlllllliiiPKfSA_
	.globl	_ZN4vllm30reshape_and_cache_flash_kernelIfhLNS_18Fp8KVCacheDataTypeE1EEEvPKT_S4_PT0_S6_PKlllllliiiPKfSA_
	.p2align	8
	.type	_ZN4vllm30reshape_and_cache_flash_kernelIfhLNS_18Fp8KVCacheDataTypeE1EEEvPKT_S4_PT0_S6_PKlllllliiiPKfSA_,@function
_ZN4vllm30reshape_and_cache_flash_kernelIfhLNS_18Fp8KVCacheDataTypeE1EEEvPKT_S4_PT0_S6_PKlllllliiiPKfSA_: ; @_ZN4vllm30reshape_and_cache_flash_kernelIfhLNS_18Fp8KVCacheDataTypeE1EEEvPKT_S4_PT0_S6_PKlllllliiiPKfSA_
; %bb.0:
	s_load_dwordx2 s[0:1], s[4:5], 0x20
	s_mov_b32 s7, 0
	s_lshl_b64 s[2:3], s[6:7], 3
	s_waitcnt lgkmcnt(0)
	s_add_u32 s0, s0, s2
	s_addc_u32 s1, s1, s3
	s_load_dwordx2 s[8:9], s[0:1], 0x0
	s_waitcnt lgkmcnt(0)
	v_cmp_lt_i64_e64 s[0:1], s[8:9], 0
	s_and_b64 vcc, exec, s[0:1]
	s_cbranch_vccnz .LBB17_604
; %bb.1:
	s_load_dwordx4 s[44:47], s[4:5], 0x50
	s_load_dwordx8 s[36:43], s[4:5], 0x0
	s_waitcnt lgkmcnt(0)
	s_ashr_i32 s47, s46, 31
	s_or_b64 s[0:1], s[8:9], s[46:47]
	s_mov_b32 s0, s7
	s_cmp_lg_u64 s[0:1], 0
	s_cbranch_scc0 .LBB17_326
; %bb.2:
	s_add_u32 s0, s46, s47
	s_mov_b32 s10, s47
	s_mov_b32 s11, s47
	s_addc_u32 s1, s47, s47
	s_xor_b64 s[12:13], s[0:1], s[10:11]
	v_cvt_f32_u32_e32 v1, s12
	v_cvt_f32_u32_e32 v2, s13
	s_sub_u32 s0, 0, s12
	s_subb_u32 s1, 0, s13
	v_madmk_f32 v1, v2, 0x4f800000, v1
	v_rcp_f32_e32 v1, v1
	v_mul_f32_e32 v1, 0x5f7ffffc, v1
	v_mul_f32_e32 v2, 0x2f800000, v1
	v_trunc_f32_e32 v2, v2
	v_madmk_f32 v1, v2, 0xcf800000, v1
	v_cvt_u32_f32_e32 v2, v2
	v_cvt_u32_f32_e32 v1, v1
	v_readfirstlane_b32 s7, v2
	v_readfirstlane_b32 s14, v1
	s_mul_i32 s15, s0, s7
	s_mul_hi_u32 s17, s0, s14
	s_mul_i32 s16, s1, s14
	s_add_i32 s15, s17, s15
	s_add_i32 s15, s15, s16
	s_mul_i32 s18, s0, s14
	s_mul_hi_u32 s16, s14, s15
	s_mul_i32 s17, s14, s15
	s_mul_hi_u32 s14, s14, s18
	s_add_u32 s14, s14, s17
	s_addc_u32 s16, 0, s16
	s_mul_hi_u32 s19, s7, s18
	s_mul_i32 s18, s7, s18
	s_add_u32 s14, s14, s18
	s_mul_hi_u32 s17, s7, s15
	s_addc_u32 s14, s16, s19
	s_addc_u32 s16, s17, 0
	s_mul_i32 s15, s7, s15
	s_add_u32 s14, s14, s15
	s_addc_u32 s15, 0, s16
	v_add_co_u32_e32 v1, vcc, s14, v1
	s_cmp_lg_u64 vcc, 0
	s_addc_u32 s7, s7, s15
	v_readfirstlane_b32 s15, v1
	s_mul_i32 s14, s0, s7
	s_mul_hi_u32 s16, s0, s15
	s_add_i32 s14, s16, s14
	s_mul_i32 s1, s1, s15
	s_add_i32 s14, s14, s1
	s_mul_i32 s0, s0, s15
	s_mul_hi_u32 s16, s7, s0
	s_mul_i32 s17, s7, s0
	s_mul_i32 s19, s15, s14
	s_mul_hi_u32 s0, s15, s0
	s_mul_hi_u32 s18, s15, s14
	s_add_u32 s0, s0, s19
	s_addc_u32 s15, 0, s18
	s_add_u32 s0, s0, s17
	s_mul_hi_u32 s1, s7, s14
	s_addc_u32 s0, s15, s16
	s_addc_u32 s1, s1, 0
	s_mul_i32 s14, s7, s14
	s_add_u32 s0, s0, s14
	s_addc_u32 s1, 0, s1
	v_add_co_u32_e32 v1, vcc, s0, v1
	s_cmp_lg_u64 vcc, 0
	s_addc_u32 s7, s7, s1
	s_ashr_i32 s14, s9, 31
	s_add_u32 s0, s8, s14
	s_mov_b32 s15, s14
	s_addc_u32 s1, s9, s14
	s_xor_b64 s[16:17], s[0:1], s[14:15]
	v_readfirstlane_b32 s18, v1
	s_mul_i32 s1, s16, s7
	s_mul_hi_u32 s19, s16, s18
	s_mul_hi_u32 s0, s16, s7
	s_add_u32 s1, s19, s1
	s_addc_u32 s0, 0, s0
	s_mul_hi_u32 s20, s17, s18
	s_mul_i32 s18, s17, s18
	s_add_u32 s1, s1, s18
	s_mul_hi_u32 s19, s17, s7
	s_addc_u32 s0, s0, s20
	s_addc_u32 s1, s19, 0
	s_mul_i32 s7, s17, s7
	s_add_u32 s7, s0, s7
	s_addc_u32 s18, 0, s1
	s_mul_i32 s0, s12, s18
	s_mul_hi_u32 s1, s12, s7
	s_add_i32 s0, s1, s0
	s_mul_i32 s1, s13, s7
	s_add_i32 s19, s0, s1
	s_mul_i32 s1, s12, s7
	v_mov_b32_e32 v1, s1
	s_sub_i32 s0, s17, s19
	v_sub_co_u32_e32 v1, vcc, s16, v1
	s_cmp_lg_u64 vcc, 0
	s_subb_u32 s16, s0, s13
	v_subrev_co_u32_e64 v2, s[0:1], s12, v1
	s_cmp_lg_u64 s[0:1], 0
	s_subb_u32 s0, s16, 0
	s_cmp_ge_u32 s0, s13
	v_readfirstlane_b32 s16, v2
	s_cselect_b32 s1, -1, 0
	s_cmp_ge_u32 s16, s12
	s_cselect_b32 s16, -1, 0
	s_cmp_eq_u32 s0, s13
	s_cselect_b32 s0, s16, s1
	s_add_u32 s1, s7, 1
	s_addc_u32 s16, s18, 0
	s_add_u32 s20, s7, 2
	s_addc_u32 s21, s18, 0
	s_cmp_lg_u32 s0, 0
	s_cselect_b32 s0, s20, s1
	s_cselect_b32 s1, s21, s16
	s_cmp_lg_u64 vcc, 0
	s_subb_u32 s16, s17, s19
	s_cmp_ge_u32 s16, s13
	v_readfirstlane_b32 s19, v1
	s_cselect_b32 s17, -1, 0
	s_cmp_ge_u32 s19, s12
	s_cselect_b32 s12, -1, 0
	s_cmp_eq_u32 s16, s13
	s_cselect_b32 s12, s12, s17
	s_cmp_lg_u32 s12, 0
	s_cselect_b32 s1, s1, s18
	s_cselect_b32 s0, s0, s7
	s_xor_b64 s[10:11], s[14:15], s[10:11]
	s_xor_b64 s[0:1], s[0:1], s[10:11]
	s_sub_u32 s10, s0, s10
	s_subb_u32 s11, s1, s11
	s_cbranch_execnz .LBB17_4
.LBB17_3:
	v_cvt_f32_u32_e32 v1, s46
	s_sub_i32 s0, 0, s46
	s_mov_b32 s11, 0
	v_rcp_iflag_f32_e32 v1, v1
	v_mul_f32_e32 v1, 0x4f7ffffe, v1
	v_cvt_u32_f32_e32 v1, v1
	v_readfirstlane_b32 s1, v1
	s_mul_i32 s0, s0, s1
	s_mul_hi_u32 s0, s1, s0
	s_add_i32 s1, s1, s0
	s_mul_hi_u32 s0, s8, s1
	s_mul_i32 s2, s0, s46
	s_sub_i32 s2, s8, s2
	s_add_i32 s1, s0, 1
	s_sub_i32 s3, s2, s46
	s_cmp_ge_u32 s2, s46
	s_cselect_b32 s0, s1, s0
	s_cselect_b32 s2, s3, s2
	s_add_i32 s1, s0, 1
	s_cmp_ge_u32 s2, s46
	s_cselect_b32 s10, s1, s0
.LBB17_4:
	s_mul_i32 s7, s10, s47
	s_mul_hi_u32 s14, s10, s46
	s_load_dwordx8 s[24:31], s[4:5], 0x28
	s_load_dwordx2 s[12:13], s[4:5], 0x48
	s_load_dwordx4 s[0:3], s[4:5], 0x60
	s_add_i32 s7, s14, s7
	s_mul_i32 s14, s11, s46
	s_add_i32 s7, s7, s14
	s_mul_i32 s14, s10, s46
	s_sub_u32 s14, s8, s14
	s_subb_u32 s15, s9, s7
	s_waitcnt lgkmcnt(0)
	s_mul_i32 s7, s6, s31
	s_mul_hi_u32 s8, s6, s30
	s_add_i32 s9, s8, s7
	s_mul_i32 s8, s6, s30
	s_lshl_b64 s[34:35], s[8:9], 2
	s_add_u32 s78, s36, s34
	s_addc_u32 s7, s37, s35
                                        ; implicit-def: $vgpr77 : SGPR spill to VGPR lane
	s_mul_hi_u32 s8, s6, s12
	v_writelane_b32 v77, s7, 0
	s_mul_i32 s7, s6, s13
	s_add_i32 s7, s8, s7
	s_mul_i32 s6, s6, s12
	s_lshl_b64 s[30:31], s[6:7], 2
	s_add_u32 s73, s38, s30
	s_mul_i32 s6, s10, s25
	s_mul_hi_u32 s7, s10, s24
	s_addc_u32 s74, s39, s31
	s_add_i32 s6, s7, s6
	s_mul_i32 s7, s11, s24
	s_add_i32 s69, s6, s7
	s_mul_i32 s70, s10, s24
	s_add_u32 s6, s40, s70
	s_mul_i32 s8, s14, s27
	s_mul_hi_u32 s9, s14, s26
	s_addc_u32 s7, s41, s69
	s_add_i32 s8, s9, s8
	s_mul_i32 s15, s15, s26
	s_add_i32 s71, s8, s15
	s_mul_i32 s72, s14, s26
	s_add_u32 s80, s6, s72
	s_addc_u32 s81, s7, s71
	s_add_u32 s6, s42, s70
	s_addc_u32 s7, s43, s69
	s_add_u32 s75, s6, s72
	s_load_dword s6, s[4:5], 0x7c
	s_load_dword s77, s[0:1], 0x0
	;; [unrolled: 1-line block ×3, first 2 shown]
	s_addc_u32 s76, s7, s71
	s_ashr_i32 s5, s45, 31
	s_mov_b32 s4, s45
	s_waitcnt lgkmcnt(0)
	s_and_b32 s68, s6, 0xffff
	s_cmp_lg_u64 s[4:5], s[28:29]
	s_mov_b64 s[0:1], -1
	s_cbranch_scc0 .LBB17_305
; %bb.5:
	v_writelane_b32 v77, s72, 1
	v_lshrrev_b32_e32 v15, 5, v0
	v_writelane_b32 v77, s70, 2
	v_cmp_gt_i32_e32 vcc, s44, v15
	s_mov_b64 s[0:1], exec
	v_writelane_b32 v77, s0, 3
	v_writelane_b32 v77, s1, 4
	s_and_b64 s[0:1], s[0:1], vcc
	s_mov_b64 exec, s[0:1]
	s_cbranch_execz .LBB17_304
; %bb.6:
	s_lshr_b32 s82, s68, 5
	s_and_b32 s0, s45, 3
	s_cmp_eq_u32 s0, 0
	s_cselect_b64 s[2:3], -1, 0
	s_ashr_i32 s83, s45, 2
	v_readlane_b32 s4, v77, 2
	v_readlane_b32 s5, v77, 1
	s_add_u32 s4, s5, s4
	s_addc_u32 s5, s71, s69
	v_pk_mov_b32 v[2:3], s[4:5], s[4:5] op_sel:[0,1]
	v_mad_u64_u32 v[2:3], s[4:5], s28, v15, v[2:3]
	v_and_b32_e32 v6, 31, v0
	v_mov_b32_e32 v4, v3
	v_mad_u64_u32 v[4:5], s[4:5], s29, v15, v[4:5]
	v_lshlrev_b32_e32 v1, 2, v6
	v_mov_b32_e32 v3, v4
	v_add_co_u32_e32 v4, vcc, v2, v1
	s_mul_i32 s4, s29, s82
	s_mul_hi_u32 s5, s28, s82
	v_addc_co_u32_e32 v5, vcc, 0, v3, vcc
	s_add_i32 s86, s5, s4
	v_mov_b32_e32 v1, s41
	v_add_co_u32_e32 v10, vcc, s40, v4
	s_add_u32 s72, s36, s34
	v_addc_co_u32_e32 v11, vcc, v1, v5, vcc
	v_lshlrev_b32_e32 v7, 4, v6
	s_addc_u32 s79, s37, s35
	v_mov_b32_e32 v8, s79
	v_add_co_u32_e32 v57, vcc, s72, v7
	v_addc_co_u32_e32 v58, vcc, 0, v8, vcc
	v_add_co_u32_e32 v14, vcc, s40, v2
	v_addc_co_u32_e32 v1, vcc, v1, v3, vcc
	;; [unrolled: 2-line block ×3, first 2 shown]
	v_mov_b32_e32 v8, s43
	v_add_co_u32_e32 v16, vcc, s42, v4
	s_add_u32 s91, s38, s30
	v_addc_co_u32_e32 v17, vcc, v8, v5, vcc
	s_addc_u32 s92, s39, s31
	v_mov_b32_e32 v4, s92
	v_add_co_u32_e32 v61, vcc, s91, v7
	v_addc_co_u32_e32 v62, vcc, 0, v4, vcc
	v_add_co_u32_e32 v18, vcc, s42, v2
	v_addc_co_u32_e32 v7, vcc, v8, v3, vcc
	v_add_co_u32_e32 v63, vcc, 8, v61
	v_readlane_b32 s4, v77, 0
	v_cmp_gt_i32_e64 s[0:1], s83, v6
	v_mov_b32_e32 v9, 0
	v_not_b32_e32 v19, v6
	v_or_b32_e32 v56, 32, v6
	s_mov_b32 s84, s77
	s_mov_b32 s85, s33
	s_mul_i32 s87, s28, s82
	v_mul_lo_u32 v12, s45, v15
	s_mul_i32 s90, s45, s82
	v_addc_co_u32_e32 v64, vcc, 0, v62, vcc
	s_mov_b64 s[48:49], 0
	v_mov_b32_e32 v65, s4
	s_xor_b64 s[50:51], s[2:3], -1
	s_movk_i32 s93, 0x80
	s_mov_b64 s[52:53], 0x7f800000
	s_mov_b64 s[54:55], 0x43e00001
	s_movk_i32 s94, 0x7a
	s_mov_b64 s[56:57], 0xffffff
	s_movk_i32 s95, 0x7f
	s_mov_b32 s70, 0x4020c0c
	s_mov_b64 s[58:59], 0x43e00000
	v_mov_b32_e32 v66, 0xffffff82
	v_mov_b32_e32 v67, 0x78
	s_branch .LBB17_9
.LBB17_7:                               ;   in Loop: Header=BB17_9 Depth=1
	s_or_b64 exec, exec, s[6:7]
.LBB17_8:                               ;   in Loop: Header=BB17_9 Depth=1
	s_or_b64 exec, exec, s[4:5]
	v_mov_b32_e32 v2, s86
	v_add_co_u32_e32 v10, vcc, s87, v10
	v_addc_co_u32_e32 v11, vcc, v11, v2, vcc
	v_add_co_u32_e32 v14, vcc, s87, v14
	v_addc_co_u32_e32 v1, vcc, v1, v2, vcc
	v_add_co_u32_e32 v16, vcc, s87, v16
	v_add_u32_e32 v15, s82, v15
	v_addc_co_u32_e32 v17, vcc, v17, v2, vcc
	v_cmp_le_i32_e32 vcc, s44, v15
	s_or_b64 s[48:49], vcc, s[48:49]
	v_add_co_u32_e32 v18, vcc, s87, v18
	v_add_u32_e32 v12, s90, v12
	v_addc_co_u32_e32 v7, vcc, v7, v2, vcc
	s_andn2_b64 exec, exec, s[48:49]
	s_cbranch_execz .LBB17_304
.LBB17_9:                               ; =>This Loop Header: Depth=1
                                        ;     Child Loop BB17_31 Depth 2
                                        ;     Child Loop BB17_82 Depth 2
	;; [unrolled: 1-line block ×8, first 2 shown]
	v_mul_lo_u32 v2, v15, s45
	v_ashrrev_i32_e32 v3, 31, v2
	v_lshlrev_b64 v[24:25], 2, v[2:3]
	v_add_co_u32_e32 v36, vcc, s78, v24
	v_mad_u64_u32 v[22:23], s[2:3], v15, s28, 0
	v_addc_co_u32_e32 v37, vcc, v65, v25, vcc
	v_mov_b32_e32 v2, v23
	v_and_b32_e32 v8, 15, v36
	v_ashrrev_i32_e32 v13, 31, v12
	v_mad_u64_u32 v[2:3], s[2:3], v15, s29, v[2:3]
	v_cmp_ne_u64_e32 vcc, 0, v[8:9]
	v_lshlrev_b64 v[20:21], 2, v[12:13]
	v_mov_b32_e32 v13, v2
	s_or_b64 s[2:3], s[50:51], vcc
	s_and_saveexec_b64 s[4:5], s[2:3]
	s_xor_b64 s[60:61], exec, s[4:5]
	s_cbranch_execz .LBB17_104
; %bb.10:                               ;   in Loop: Header=BB17_9 Depth=1
	v_mov_b32_e32 v2, s81
	v_add_co_u32_e32 v38, vcc, s80, v22
	v_addc_co_u32_e32 v39, vcc, v2, v13, vcc
	v_sub_u32_e32 v2, 0, v36
	v_bfe_u32 v2, v2, 2, 2
	v_min_i32_e32 v26, s45, v2
	v_cmp_gt_i32_e32 vcc, v26, v6
	s_and_saveexec_b64 s[4:5], vcc
	s_cbranch_execz .LBB17_28
; %bb.11:                               ;   in Loop: Header=BB17_9 Depth=1
	v_lshlrev_b32_e32 v2, 2, v6
	v_add_co_u32_e32 v2, vcc, v36, v2
	v_addc_co_u32_e32 v3, vcc, 0, v37, vcc
	global_load_dword v2, v[2:3], off
	v_mov_b32_e32 v29, v9
	s_waitcnt vmcnt(0)
	v_div_scale_f32 v3, s[2:3], s77, s77, v2
	v_rcp_f32_e32 v4, v3
	v_div_scale_f32 v5, vcc, v2, s77, v2
	v_fma_f32 v8, -v3, v4, 1.0
	v_fmac_f32_e32 v4, v8, v4
	v_mul_f32_e32 v8, v5, v4
	v_fma_f32 v23, -v3, v8, v5
	v_fmac_f32_e32 v8, v23, v4
	v_fma_f32 v3, -v3, v8, v5
	v_div_fmas_f32 v3, v3, v4, v8
	v_div_fixup_f32 v2, v3, s77, v2
	v_and_b32_sdwa v4, v2, s93 dst_sel:DWORD dst_unused:UNUSED_PAD src0_sel:BYTE_3 src1_sel:DWORD
	v_and_b32_e32 v28, 0x7f800000, v2
	v_and_b32_e32 v8, 0x7fffff, v2
	v_or_b32_e32 v3, 0x7e, v4
	v_cmp_ne_u64_e32 vcc, s[52:53], v[28:29]
	s_and_saveexec_b64 s[2:3], vcc
	s_xor_b64 s[6:7], exec, s[2:3]
	s_cbranch_execz .LBB17_25
; %bb.12:                               ;   in Loop: Header=BB17_9 Depth=1
	v_and_b32_e32 v28, 0x7fffffff, v2
	v_mov_b32_e32 v29, v9
	v_cmp_gt_u64_e32 vcc, s[54:55], v[28:29]
	s_and_saveexec_b64 s[2:3], vcc
	s_xor_b64 s[8:9], exec, s[2:3]
	s_cbranch_execz .LBB17_24
; %bb.13:                               ;   in Loop: Header=BB17_9 Depth=1
	v_cmp_ne_u32_e32 vcc, 0, v2
	v_mov_b32_e32 v3, 0
	s_and_saveexec_b64 s[10:11], vcc
	s_cbranch_execz .LBB17_23
; %bb.14:                               ;   in Loop: Header=BB17_9 Depth=1
	v_bfe_u32 v2, v2, 23, 8
	v_sub_u32_e32 v5, 0x79, v2
	v_cmp_gt_u32_e32 vcc, s94, v2
	v_cndmask_b32_e32 v5, 0, v5, vcc
	v_cmp_eq_u32_e32 vcc, 0, v2
	v_cndmask_b32_e32 v5, v5, v67, vcc
	v_add_u32_e32 v3, 0xffffff81, v2
	v_or_b32_e32 v23, 0x800000, v8
	v_add_u32_e32 v2, 20, v5
	v_cndmask_b32_e32 v27, v3, v66, vcc
	v_cndmask_b32_e32 v8, v23, v8, vcc
	v_lshlrev_b64 v[2:3], v2, -1
	v_not_b32_e32 v2, v2
	v_lshrrev_b64 v[30:31], v5, v[8:9]
	v_not_b32_e32 v3, v3
	v_and_b32_e32 v2, v8, v2
	v_add_u32_e32 v23, 19, v5
	v_lshrrev_b32_e32 v8, 23, v30
	v_and_b32_e32 v3, 0, v3
	v_lshlrev_b64 v[28:29], v23, 1
	v_add3_u32 v23, v5, v27, v8
	v_bfe_u32 v5, v30, 20, 1
	v_add_u32_e32 v5, -1, v5
	v_cmp_eq_u64_e32 vcc, v[2:3], v[28:29]
	v_cndmask_b32_e32 v2, 0, v5, vcc
	v_add_u32_e32 v2, v2, v30
	v_and_b32_e32 v2, 0xfffff, v2
	v_add_co_u32_e32 v2, vcc, v2, v30
	v_add_u32_e32 v8, 6, v23
	v_addc_co_u32_e32 v3, vcc, 0, v31, vcc
	v_cmp_ne_u32_e32 vcc, 0, v8
                                        ; implicit-def: $vgpr5
	s_and_saveexec_b64 s[2:3], vcc
	s_xor_b64 s[2:3], exec, s[2:3]
; %bb.15:                               ;   in Loop: Header=BB17_9 Depth=1
	v_add_u32_e32 v5, 7, v23
	v_cmp_lt_u64_e32 vcc, s[56:57], v[2:3]
	v_cndmask_b32_e32 v5, v8, v5, vcc
	v_cndmask_b32_e64 v8, 0, 1, vcc
	v_lshrrev_b64 v[2:3], v8, v[2:3]
; %bb.16:                               ;   in Loop: Header=BB17_9 Depth=1
	s_andn2_saveexec_b64 s[2:3], s[2:3]
; %bb.17:                               ;   in Loop: Header=BB17_9 Depth=1
	v_bfe_u32 v5, v2, 23, 1
; %bb.18:                               ;   in Loop: Header=BB17_9 Depth=1
	s_or_b64 exec, exec, s[2:3]
	v_lshrrev_b64 v[2:3], 20, v[2:3]
	v_cmp_gt_i32_e32 vcc, 16, v5
	v_cndmask_b32_e32 v3, 0, v3, vcc
	v_cndmask_b32_e32 v2, 7, v2, vcc
	v_cmp_ne_u32_e32 vcc, 0, v5
	v_cmp_ne_u64_e64 s[2:3], 0, v[2:3]
	s_or_b64 s[2:3], vcc, s[2:3]
                                        ; implicit-def: $vgpr3
	s_and_saveexec_b64 s[12:13], s[2:3]
	s_xor_b64 s[2:3], exec, s[12:13]
; %bb.19:                               ;   in Loop: Header=BB17_9 Depth=1
	v_min_i32_e32 v3, 15, v5
	v_lshl_or_b32 v3, v3, 3, v4
	v_and_or_b32 v3, v2, 7, v3
                                        ; implicit-def: $vgpr4
; %bb.20:                               ;   in Loop: Header=BB17_9 Depth=1
	s_andn2_saveexec_b64 s[2:3], s[2:3]
; %bb.21:                               ;   in Loop: Header=BB17_9 Depth=1
	v_mov_b32_e32 v3, v4
; %bb.22:                               ;   in Loop: Header=BB17_9 Depth=1
	s_or_b64 exec, exec, s[2:3]
.LBB17_23:                              ;   in Loop: Header=BB17_9 Depth=1
	s_or_b64 exec, exec, s[10:11]
.LBB17_24:                              ;   in Loop: Header=BB17_9 Depth=1
	s_andn2_saveexec_b64 s[2:3], s[8:9]
	s_or_b64 exec, exec, s[2:3]
                                        ; implicit-def: $vgpr2
.LBB17_25:                              ;   in Loop: Header=BB17_9 Depth=1
	s_andn2_saveexec_b64 s[2:3], s[6:7]
; %bb.26:                               ;   in Loop: Header=BB17_9 Depth=1
	v_or_b32_sdwa v2, v2, s95 dst_sel:DWORD dst_unused:UNUSED_PAD src0_sel:BYTE_3 src1_sel:DWORD
	v_cmp_eq_u64_e32 vcc, 0, v[8:9]
	v_cndmask_b32_e32 v3, v2, v3, vcc
; %bb.27:                               ;   in Loop: Header=BB17_9 Depth=1
	s_or_b64 exec, exec, s[2:3]
	v_add_co_u32_e32 v4, vcc, v38, v6
	v_addc_co_u32_e32 v5, vcc, 0, v39, vcc
	global_store_byte v[4:5], v3, off
.LBB17_28:                              ;   in Loop: Header=BB17_9 Depth=1
	s_or_b64 exec, exec, s[4:5]
	v_sub_u32_e32 v23, s45, v26
	v_ashrrev_i32_e32 v2, 31, v23
	v_lshrrev_b32_e32 v2, 30, v2
	v_add_u32_e32 v2, v23, v2
	v_ashrrev_i32_e32 v27, 31, v26
	v_ashrrev_i32_e32 v40, 2, v2
	v_cmp_gt_i32_e32 vcc, v40, v6
	v_lshlrev_b64 v[28:29], 2, v[26:27]
	s_and_saveexec_b64 s[4:5], vcc
	s_cbranch_execz .LBB17_79
; %bb.29:                               ;   in Loop: Header=BB17_9 Depth=1
	v_add_co_u32_e32 v30, vcc, v10, v26
	v_addc_co_u32_e32 v31, vcc, v11, v27, vcc
	v_add_co_u32_e32 v2, vcc, v28, v20
	v_addc_co_u32_e32 v3, vcc, v29, v21, vcc
	;; [unrolled: 2-line block ×3, first 2 shown]
	s_mov_b64 s[6:7], 0
	v_mov_b32_e32 v41, v6
	s_branch .LBB17_31
.LBB17_30:                              ;   in Loop: Header=BB17_31 Depth=2
	s_or_b64 exec, exec, s[2:3]
	v_lshlrev_b32_e32 v3, 16, v4
	v_perm_b32 v2, v2, v3, s70
	v_lshlrev_b32_e32 v3, 8, v35
	v_and_b32_e32 v3, 0xff00, v3
	v_and_b32_e32 v4, 0xff, v34
	v_or3_b32 v2, v2, v3, v4
	global_store_dword v[30:31], v2, off
	v_add_co_u32_e32 v30, vcc, 0x80, v30
	v_add_u32_e32 v41, 32, v41
	v_addc_co_u32_e32 v31, vcc, 0, v31, vcc
	v_add_co_u32_e32 v32, vcc, 0x200, v32
	v_cmp_ge_i32_e64 s[2:3], v41, v40
	s_or_b64 s[6:7], s[2:3], s[6:7]
	v_addc_co_u32_e32 v33, vcc, 0, v33, vcc
	s_andn2_b64 exec, exec, s[6:7]
	s_cbranch_execz .LBB17_79
.LBB17_31:                              ;   Parent Loop BB17_9 Depth=1
                                        ; =>  This Inner Loop Header: Depth=2
	global_load_dwordx4 v[2:5], v[32:33], off
	v_mov_b32_e32 v43, v9
	s_waitcnt vmcnt(0)
	v_div_scale_f32 v8, s[2:3], s77, s77, v2
	v_rcp_f32_e32 v34, v8
	v_div_scale_f32 v35, vcc, v2, s77, v2
	v_fma_f32 v42, -v8, v34, 1.0
	v_fmac_f32_e32 v34, v42, v34
	v_mul_f32_e32 v42, v35, v34
	v_fma_f32 v44, -v8, v42, v35
	v_fmac_f32_e32 v42, v44, v34
	v_fma_f32 v8, -v8, v42, v35
	v_div_fmas_f32 v8, v8, v34, v42
	v_div_fixup_f32 v35, v8, s77, v2
	v_and_b32_sdwa v2, v35, s93 dst_sel:DWORD dst_unused:UNUSED_PAD src0_sel:BYTE_3 src1_sel:DWORD
	v_and_b32_e32 v42, 0x7f800000, v35
	v_and_b32_e32 v8, 0x7fffff, v35
	v_or_b32_e32 v34, 0x7e, v2
	v_cmp_ne_u64_e32 vcc, s[52:53], v[42:43]
	s_and_saveexec_b64 s[2:3], vcc
	s_xor_b64 s[8:9], exec, s[2:3]
	s_cbranch_execz .LBB17_41
; %bb.32:                               ;   in Loop: Header=BB17_31 Depth=2
	v_and_b32_e32 v42, 0x7fffffff, v35
	v_mov_b32_e32 v43, v9
	v_cmp_gt_u64_e32 vcc, s[54:55], v[42:43]
	s_and_saveexec_b64 s[10:11], vcc
	s_cbranch_execz .LBB17_40
; %bb.33:                               ;   in Loop: Header=BB17_31 Depth=2
	v_cmp_ne_u32_e32 vcc, 0, v35
	v_mov_b32_e32 v34, 0
	s_and_saveexec_b64 s[12:13], vcc
	s_cbranch_execz .LBB17_39
; %bb.34:                               ;   in Loop: Header=BB17_31 Depth=2
	v_bfe_u32 v34, v35, 23, 8
	v_sub_u32_e32 v42, 0x79, v34
	v_cmp_gt_u32_e32 vcc, s94, v34
	v_cndmask_b32_e32 v42, 0, v42, vcc
	v_cmp_eq_u32_e32 vcc, 0, v34
	v_cndmask_b32_e32 v42, v42, v67, vcc
	v_add_u32_e32 v35, 0xffffff81, v34
	v_or_b32_e32 v43, 0x800000, v8
	v_add_u32_e32 v34, 20, v42
	v_cndmask_b32_e32 v48, v35, v66, vcc
	v_cndmask_b32_e32 v8, v43, v8, vcc
	v_lshlrev_b64 v[34:35], v34, -1
	v_not_b32_e32 v34, v34
	v_lshrrev_b64 v[46:47], v42, v[8:9]
	v_not_b32_e32 v35, v35
	v_and_b32_e32 v34, v8, v34
	v_add_u32_e32 v43, 19, v42
	v_lshrrev_b32_e32 v8, 23, v46
	v_and_b32_e32 v35, 0, v35
	v_lshlrev_b64 v[44:45], v43, 1
	v_add3_u32 v43, v42, v48, v8
	v_bfe_u32 v8, v46, 20, 1
	v_add_u32_e32 v8, -1, v8
	v_cmp_eq_u64_e32 vcc, v[34:35], v[44:45]
	v_cndmask_b32_e32 v8, 0, v8, vcc
	v_add_u32_e32 v8, v8, v46
	v_and_b32_e32 v8, 0xfffff, v8
	v_add_co_u32_e32 v34, vcc, v8, v46
	v_add_u32_e32 v42, 6, v43
	v_addc_co_u32_e32 v35, vcc, 0, v47, vcc
	v_cmp_ne_u32_e32 vcc, 0, v42
                                        ; implicit-def: $vgpr8
	s_and_saveexec_b64 s[2:3], vcc
	s_xor_b64 s[2:3], exec, s[2:3]
; %bb.35:                               ;   in Loop: Header=BB17_31 Depth=2
	v_add_u32_e32 v8, 7, v43
	v_cmp_lt_u64_e32 vcc, s[56:57], v[34:35]
	v_cndmask_b32_e32 v8, v42, v8, vcc
	v_cndmask_b32_e64 v42, 0, 1, vcc
	v_lshrrev_b64 v[34:35], v42, v[34:35]
; %bb.36:                               ;   in Loop: Header=BB17_31 Depth=2
	s_andn2_saveexec_b64 s[2:3], s[2:3]
; %bb.37:                               ;   in Loop: Header=BB17_31 Depth=2
	v_bfe_u32 v8, v34, 23, 1
; %bb.38:                               ;   in Loop: Header=BB17_31 Depth=2
	s_or_b64 exec, exec, s[2:3]
	v_lshrrev_b64 v[34:35], 20, v[34:35]
	v_cmp_gt_i32_e32 vcc, 16, v8
	v_cndmask_b32_e32 v35, 0, v35, vcc
	v_cndmask_b32_e32 v34, 7, v34, vcc
	v_cmp_eq_u32_e32 vcc, 0, v8
	v_min_i32_e32 v8, 15, v8
	v_cmp_eq_u64_e64 s[2:3], 0, v[34:35]
	v_lshlrev_b32_e32 v8, 3, v8
	v_and_or_b32 v8, v34, 7, v8
	s_and_b64 s[2:3], vcc, s[2:3]
	v_cndmask_b32_e64 v8, v8, 0, s[2:3]
	v_or_b32_e32 v34, v8, v2
.LBB17_39:                              ;   in Loop: Header=BB17_31 Depth=2
	s_or_b64 exec, exec, s[12:13]
.LBB17_40:                              ;   in Loop: Header=BB17_31 Depth=2
	s_or_b64 exec, exec, s[10:11]
                                        ; implicit-def: $vgpr35
.LBB17_41:                              ;   in Loop: Header=BB17_31 Depth=2
	s_andn2_saveexec_b64 s[2:3], s[8:9]
; %bb.42:                               ;   in Loop: Header=BB17_31 Depth=2
	v_or_b32_sdwa v2, v35, s95 dst_sel:DWORD dst_unused:UNUSED_PAD src0_sel:BYTE_3 src1_sel:DWORD
	v_cmp_eq_u64_e32 vcc, 0, v[8:9]
	v_cndmask_b32_e32 v34, v2, v34, vcc
; %bb.43:                               ;   in Loop: Header=BB17_31 Depth=2
	s_or_b64 exec, exec, s[2:3]
	v_div_scale_f32 v2, s[2:3], s77, s77, v3
	v_rcp_f32_e32 v8, v2
	v_div_scale_f32 v35, vcc, v3, s77, v3
	v_mov_b32_e32 v45, v9
	v_fma_f32 v42, -v2, v8, 1.0
	v_fmac_f32_e32 v8, v42, v8
	v_mul_f32_e32 v42, v35, v8
	v_fma_f32 v43, -v2, v42, v35
	v_fmac_f32_e32 v42, v43, v8
	v_fma_f32 v2, -v2, v42, v35
	v_div_fmas_f32 v2, v2, v8, v42
	v_div_fixup_f32 v2, v2, s77, v3
	v_and_b32_sdwa v42, v2, s93 dst_sel:DWORD dst_unused:UNUSED_PAD src0_sel:BYTE_3 src1_sel:DWORD
	v_and_b32_e32 v44, 0x7f800000, v2
	v_and_b32_e32 v8, 0x7fffff, v2
	v_or_b32_e32 v35, 0x7e, v42
	v_cmp_ne_u64_e32 vcc, s[52:53], v[44:45]
	s_and_saveexec_b64 s[2:3], vcc
	s_xor_b64 s[8:9], exec, s[2:3]
	s_cbranch_execz .LBB17_53
; %bb.44:                               ;   in Loop: Header=BB17_31 Depth=2
	v_and_b32_e32 v44, 0x7fffffff, v2
	v_mov_b32_e32 v45, v9
	v_cmp_gt_u64_e32 vcc, s[54:55], v[44:45]
	s_and_saveexec_b64 s[10:11], vcc
	s_cbranch_execz .LBB17_52
; %bb.45:                               ;   in Loop: Header=BB17_31 Depth=2
	v_cmp_ne_u32_e32 vcc, 0, v2
	v_mov_b32_e32 v35, 0
	s_and_saveexec_b64 s[12:13], vcc
	s_cbranch_execz .LBB17_51
; %bb.46:                               ;   in Loop: Header=BB17_31 Depth=2
	v_bfe_u32 v2, v2, 23, 8
	v_sub_u32_e32 v35, 0x79, v2
	v_cmp_gt_u32_e32 vcc, s94, v2
	v_cndmask_b32_e32 v35, 0, v35, vcc
	v_cmp_eq_u32_e32 vcc, 0, v2
	v_cndmask_b32_e32 v35, v35, v67, vcc
	v_add_u32_e32 v3, 0xffffff81, v2
	v_or_b32_e32 v43, 0x800000, v8
	v_add_u32_e32 v2, 20, v35
	v_cndmask_b32_e32 v48, v3, v66, vcc
	v_cndmask_b32_e32 v8, v43, v8, vcc
	v_lshlrev_b64 v[2:3], v2, -1
	v_not_b32_e32 v2, v2
	v_lshrrev_b64 v[46:47], v35, v[8:9]
	v_not_b32_e32 v3, v3
	v_and_b32_e32 v2, v8, v2
	v_add_u32_e32 v43, 19, v35
	v_lshrrev_b32_e32 v8, 23, v46
	v_and_b32_e32 v3, 0, v3
	v_lshlrev_b64 v[44:45], v43, 1
	v_add3_u32 v43, v35, v48, v8
	v_bfe_u32 v8, v46, 20, 1
	v_add_u32_e32 v8, -1, v8
	v_cmp_eq_u64_e32 vcc, v[2:3], v[44:45]
	v_cndmask_b32_e32 v2, 0, v8, vcc
	v_add_u32_e32 v2, v2, v46
	v_and_b32_e32 v2, 0xfffff, v2
	v_add_co_u32_e32 v2, vcc, v2, v46
	v_add_u32_e32 v35, 6, v43
	v_addc_co_u32_e32 v3, vcc, 0, v47, vcc
	v_cmp_ne_u32_e32 vcc, 0, v35
                                        ; implicit-def: $vgpr8
	s_and_saveexec_b64 s[2:3], vcc
	s_xor_b64 s[2:3], exec, s[2:3]
; %bb.47:                               ;   in Loop: Header=BB17_31 Depth=2
	v_add_u32_e32 v8, 7, v43
	v_cmp_lt_u64_e32 vcc, s[56:57], v[2:3]
	v_cndmask_b32_e32 v8, v35, v8, vcc
	v_cndmask_b32_e64 v35, 0, 1, vcc
	v_lshrrev_b64 v[2:3], v35, v[2:3]
; %bb.48:                               ;   in Loop: Header=BB17_31 Depth=2
	s_andn2_saveexec_b64 s[2:3], s[2:3]
; %bb.49:                               ;   in Loop: Header=BB17_31 Depth=2
	v_bfe_u32 v8, v2, 23, 1
; %bb.50:                               ;   in Loop: Header=BB17_31 Depth=2
	s_or_b64 exec, exec, s[2:3]
	v_lshrrev_b64 v[2:3], 20, v[2:3]
	v_cmp_gt_i32_e32 vcc, 16, v8
	v_cndmask_b32_e32 v3, 0, v3, vcc
	v_cndmask_b32_e32 v2, 7, v2, vcc
	v_cmp_eq_u64_e64 s[2:3], 0, v[2:3]
	v_min_i32_e32 v3, 15, v8
	v_cmp_eq_u32_e32 vcc, 0, v8
	v_lshlrev_b32_e32 v3, 3, v3
	v_and_or_b32 v2, v2, 7, v3
	s_and_b64 s[2:3], vcc, s[2:3]
	v_cndmask_b32_e64 v2, v2, 0, s[2:3]
	v_or_b32_e32 v35, v2, v42
.LBB17_51:                              ;   in Loop: Header=BB17_31 Depth=2
	s_or_b64 exec, exec, s[12:13]
.LBB17_52:                              ;   in Loop: Header=BB17_31 Depth=2
	s_or_b64 exec, exec, s[10:11]
                                        ; implicit-def: $vgpr2
.LBB17_53:                              ;   in Loop: Header=BB17_31 Depth=2
	s_andn2_saveexec_b64 s[2:3], s[8:9]
; %bb.54:                               ;   in Loop: Header=BB17_31 Depth=2
	v_or_b32_sdwa v2, v2, s95 dst_sel:DWORD dst_unused:UNUSED_PAD src0_sel:BYTE_3 src1_sel:DWORD
	v_cmp_eq_u64_e32 vcc, 0, v[8:9]
	v_cndmask_b32_e32 v35, v2, v35, vcc
; %bb.55:                               ;   in Loop: Header=BB17_31 Depth=2
	s_or_b64 exec, exec, s[2:3]
	v_div_scale_f32 v2, s[2:3], s77, s77, v4
	v_rcp_f32_e32 v3, v2
	v_div_scale_f32 v8, vcc, v4, s77, v4
	v_mov_b32_e32 v45, v9
	v_fma_f32 v42, -v2, v3, 1.0
	v_fmac_f32_e32 v3, v42, v3
	v_mul_f32_e32 v42, v8, v3
	v_fma_f32 v43, -v2, v42, v8
	v_fmac_f32_e32 v42, v43, v3
	v_fma_f32 v2, -v2, v42, v8
	v_div_fmas_f32 v2, v2, v3, v42
	v_div_fixup_f32 v2, v2, s77, v4
	v_and_b32_sdwa v42, v2, s93 dst_sel:DWORD dst_unused:UNUSED_PAD src0_sel:BYTE_3 src1_sel:DWORD
	v_and_b32_e32 v44, 0x7f800000, v2
	v_and_b32_e32 v8, 0x7fffff, v2
	v_or_b32_e32 v4, 0x7e, v42
	v_cmp_ne_u64_e32 vcc, s[52:53], v[44:45]
	s_and_saveexec_b64 s[2:3], vcc
	s_xor_b64 s[8:9], exec, s[2:3]
	s_cbranch_execz .LBB17_65
; %bb.56:                               ;   in Loop: Header=BB17_31 Depth=2
	v_and_b32_e32 v44, 0x7fffffff, v2
	v_mov_b32_e32 v45, v9
	v_cmp_gt_u64_e32 vcc, s[54:55], v[44:45]
	s_and_saveexec_b64 s[10:11], vcc
	s_cbranch_execz .LBB17_64
; %bb.57:                               ;   in Loop: Header=BB17_31 Depth=2
	v_cmp_ne_u32_e32 vcc, 0, v2
	v_mov_b32_e32 v4, 0
	s_and_saveexec_b64 s[12:13], vcc
	s_cbranch_execz .LBB17_63
; %bb.58:                               ;   in Loop: Header=BB17_31 Depth=2
	v_bfe_u32 v2, v2, 23, 8
	v_sub_u32_e32 v4, 0x79, v2
	v_cmp_gt_u32_e32 vcc, s94, v2
	v_cndmask_b32_e32 v4, 0, v4, vcc
	v_cmp_eq_u32_e32 vcc, 0, v2
	v_cndmask_b32_e32 v4, v4, v67, vcc
	v_add_u32_e32 v3, 0xffffff81, v2
	v_or_b32_e32 v43, 0x800000, v8
	v_add_u32_e32 v2, 20, v4
	v_cndmask_b32_e32 v48, v3, v66, vcc
	v_cndmask_b32_e32 v8, v43, v8, vcc
	v_lshlrev_b64 v[2:3], v2, -1
	v_not_b32_e32 v2, v2
	v_lshrrev_b64 v[46:47], v4, v[8:9]
	v_not_b32_e32 v3, v3
	v_and_b32_e32 v2, v8, v2
	v_add_u32_e32 v43, 19, v4
	v_lshrrev_b32_e32 v8, 23, v46
	v_and_b32_e32 v3, 0, v3
	v_lshlrev_b64 v[44:45], v43, 1
	v_add3_u32 v43, v4, v48, v8
	v_bfe_u32 v4, v46, 20, 1
	v_add_u32_e32 v4, -1, v4
	v_cmp_eq_u64_e32 vcc, v[2:3], v[44:45]
	v_cndmask_b32_e32 v2, 0, v4, vcc
	v_add_u32_e32 v2, v2, v46
	v_and_b32_e32 v2, 0xfffff, v2
	v_add_co_u32_e32 v2, vcc, v2, v46
	v_add_u32_e32 v8, 6, v43
	v_addc_co_u32_e32 v3, vcc, 0, v47, vcc
	v_cmp_ne_u32_e32 vcc, 0, v8
                                        ; implicit-def: $vgpr4
	s_and_saveexec_b64 s[2:3], vcc
	s_xor_b64 s[2:3], exec, s[2:3]
; %bb.59:                               ;   in Loop: Header=BB17_31 Depth=2
	v_add_u32_e32 v4, 7, v43
	v_cmp_lt_u64_e32 vcc, s[56:57], v[2:3]
	v_cndmask_b32_e32 v4, v8, v4, vcc
	v_cndmask_b32_e64 v8, 0, 1, vcc
	v_lshrrev_b64 v[2:3], v8, v[2:3]
; %bb.60:                               ;   in Loop: Header=BB17_31 Depth=2
	s_andn2_saveexec_b64 s[2:3], s[2:3]
; %bb.61:                               ;   in Loop: Header=BB17_31 Depth=2
	v_bfe_u32 v4, v2, 23, 1
; %bb.62:                               ;   in Loop: Header=BB17_31 Depth=2
	s_or_b64 exec, exec, s[2:3]
	v_lshrrev_b64 v[2:3], 20, v[2:3]
	v_cmp_gt_i32_e32 vcc, 16, v4
	v_cndmask_b32_e32 v3, 0, v3, vcc
	v_cndmask_b32_e32 v2, 7, v2, vcc
	v_cmp_eq_u64_e64 s[2:3], 0, v[2:3]
	v_min_i32_e32 v3, 15, v4
	v_cmp_eq_u32_e32 vcc, 0, v4
	v_lshlrev_b32_e32 v3, 3, v3
	v_and_or_b32 v2, v2, 7, v3
	s_and_b64 s[2:3], vcc, s[2:3]
	v_cndmask_b32_e64 v2, v2, 0, s[2:3]
	v_or_b32_e32 v4, v2, v42
.LBB17_63:                              ;   in Loop: Header=BB17_31 Depth=2
	s_or_b64 exec, exec, s[12:13]
.LBB17_64:                              ;   in Loop: Header=BB17_31 Depth=2
	s_or_b64 exec, exec, s[10:11]
                                        ; implicit-def: $vgpr2
.LBB17_65:                              ;   in Loop: Header=BB17_31 Depth=2
	s_andn2_saveexec_b64 s[2:3], s[8:9]
; %bb.66:                               ;   in Loop: Header=BB17_31 Depth=2
	v_or_b32_sdwa v2, v2, s95 dst_sel:DWORD dst_unused:UNUSED_PAD src0_sel:BYTE_3 src1_sel:DWORD
	v_cmp_eq_u64_e32 vcc, 0, v[8:9]
	v_cndmask_b32_e32 v4, v2, v4, vcc
; %bb.67:                               ;   in Loop: Header=BB17_31 Depth=2
	s_or_b64 exec, exec, s[2:3]
	v_div_scale_f32 v2, s[2:3], s77, s77, v5
	v_rcp_f32_e32 v3, v2
	v_div_scale_f32 v8, vcc, v5, s77, v5
	v_fma_f32 v42, -v2, v3, 1.0
	v_fmac_f32_e32 v3, v42, v3
	v_mul_f32_e32 v42, v8, v3
	v_fma_f32 v43, -v2, v42, v8
	v_fmac_f32_e32 v42, v43, v3
	v_fma_f32 v2, -v2, v42, v8
	v_div_fmas_f32 v2, v2, v3, v42
	v_div_fixup_f32 v3, v2, s77, v5
	v_and_b32_sdwa v5, v3, s93 dst_sel:DWORD dst_unused:UNUSED_PAD src0_sel:BYTE_3 src1_sel:DWORD
	v_and_b32_e32 v42, 0x7f800000, v3
	v_mov_b32_e32 v43, v9
	v_and_b32_e32 v8, 0x7fffff, v3
	v_or_b32_e32 v2, 0x7e, v5
	v_cmp_ne_u64_e32 vcc, s[52:53], v[42:43]
	s_and_saveexec_b64 s[2:3], vcc
	s_xor_b64 s[8:9], exec, s[2:3]
	s_cbranch_execz .LBB17_77
; %bb.68:                               ;   in Loop: Header=BB17_31 Depth=2
	v_and_b32_e32 v42, 0x7fffffff, v3
	v_mov_b32_e32 v43, v9
	v_cmp_gt_u64_e32 vcc, s[54:55], v[42:43]
	s_and_saveexec_b64 s[10:11], vcc
	s_cbranch_execz .LBB17_76
; %bb.69:                               ;   in Loop: Header=BB17_31 Depth=2
	v_cmp_ne_u32_e32 vcc, 0, v3
	v_mov_b32_e32 v2, 0
	s_and_saveexec_b64 s[12:13], vcc
	s_cbranch_execz .LBB17_75
; %bb.70:                               ;   in Loop: Header=BB17_31 Depth=2
	v_bfe_u32 v2, v3, 23, 8
	v_sub_u32_e32 v42, 0x79, v2
	v_cmp_gt_u32_e32 vcc, s94, v2
	v_cndmask_b32_e32 v42, 0, v42, vcc
	v_cmp_eq_u32_e32 vcc, 0, v2
	v_cndmask_b32_e32 v42, v42, v67, vcc
	v_add_u32_e32 v3, 0xffffff81, v2
	v_or_b32_e32 v43, 0x800000, v8
	v_add_u32_e32 v2, 20, v42
	v_cndmask_b32_e32 v48, v3, v66, vcc
	v_cndmask_b32_e32 v8, v43, v8, vcc
	v_lshlrev_b64 v[2:3], v2, -1
	v_not_b32_e32 v2, v2
	v_lshrrev_b64 v[46:47], v42, v[8:9]
	v_not_b32_e32 v3, v3
	v_and_b32_e32 v2, v8, v2
	v_add_u32_e32 v43, 19, v42
	v_lshrrev_b32_e32 v8, 23, v46
	v_and_b32_e32 v3, 0, v3
	v_lshlrev_b64 v[44:45], v43, 1
	v_add3_u32 v43, v42, v48, v8
	v_bfe_u32 v8, v46, 20, 1
	v_add_u32_e32 v8, -1, v8
	v_cmp_eq_u64_e32 vcc, v[2:3], v[44:45]
	v_cndmask_b32_e32 v2, 0, v8, vcc
	v_add_u32_e32 v2, v2, v46
	v_and_b32_e32 v2, 0xfffff, v2
	v_add_co_u32_e32 v2, vcc, v2, v46
	v_add_u32_e32 v42, 6, v43
	v_addc_co_u32_e32 v3, vcc, 0, v47, vcc
	v_cmp_ne_u32_e32 vcc, 0, v42
                                        ; implicit-def: $vgpr8
	s_and_saveexec_b64 s[2:3], vcc
	s_xor_b64 s[2:3], exec, s[2:3]
; %bb.71:                               ;   in Loop: Header=BB17_31 Depth=2
	v_add_u32_e32 v8, 7, v43
	v_cmp_lt_u64_e32 vcc, s[56:57], v[2:3]
	v_cndmask_b32_e32 v8, v42, v8, vcc
	v_cndmask_b32_e64 v42, 0, 1, vcc
	v_lshrrev_b64 v[2:3], v42, v[2:3]
; %bb.72:                               ;   in Loop: Header=BB17_31 Depth=2
	s_andn2_saveexec_b64 s[2:3], s[2:3]
; %bb.73:                               ;   in Loop: Header=BB17_31 Depth=2
	v_bfe_u32 v8, v2, 23, 1
; %bb.74:                               ;   in Loop: Header=BB17_31 Depth=2
	s_or_b64 exec, exec, s[2:3]
	v_lshrrev_b64 v[2:3], 20, v[2:3]
	v_cmp_gt_i32_e32 vcc, 16, v8
	v_cndmask_b32_e32 v3, 0, v3, vcc
	v_cndmask_b32_e32 v2, 7, v2, vcc
	v_cmp_eq_u64_e64 s[2:3], 0, v[2:3]
	v_min_i32_e32 v3, 15, v8
	v_cmp_eq_u32_e32 vcc, 0, v8
	v_lshlrev_b32_e32 v3, 3, v3
	v_and_or_b32 v2, v2, 7, v3
	s_and_b64 s[2:3], vcc, s[2:3]
	v_cndmask_b32_e64 v2, v2, 0, s[2:3]
	v_or_b32_e32 v2, v2, v5
.LBB17_75:                              ;   in Loop: Header=BB17_31 Depth=2
	s_or_b64 exec, exec, s[12:13]
.LBB17_76:                              ;   in Loop: Header=BB17_31 Depth=2
	s_or_b64 exec, exec, s[10:11]
                                        ; implicit-def: $vgpr3
.LBB17_77:                              ;   in Loop: Header=BB17_31 Depth=2
	s_andn2_saveexec_b64 s[2:3], s[8:9]
	s_cbranch_execz .LBB17_30
; %bb.78:                               ;   in Loop: Header=BB17_31 Depth=2
	v_or_b32_sdwa v3, v3, s95 dst_sel:DWORD dst_unused:UNUSED_PAD src0_sel:BYTE_3 src1_sel:DWORD
	v_cmp_eq_u64_e32 vcc, 0, v[8:9]
	v_cndmask_b32_e32 v2, v3, v2, vcc
	s_branch .LBB17_30
.LBB17_79:                              ;   in Loop: Header=BB17_9 Depth=1
	s_or_b64 exec, exec, s[4:5]
	v_lshlrev_b32_e32 v3, 2, v40
	v_add_u32_e32 v2, v3, v6
	v_cmp_lt_i32_e32 vcc, v2, v23
	s_and_saveexec_b64 s[62:63], vcc
	s_cbranch_execz .LBB17_103
; %bb.80:                               ;   in Loop: Header=BB17_9 Depth=1
	v_add_u32_e32 v4, v56, v3
	v_max_i32_e32 v4, v4, v23
	v_add_u32_e32 v4, v4, v19
	v_sub_u32_e32 v3, v4, v3
	v_cmp_lt_u32_e32 vcc, 31, v3
	s_mov_b64 s[2:3], -1
	s_and_saveexec_b64 s[64:65], vcc
	s_cbranch_execz .LBB17_84
; %bb.81:                               ;   in Loop: Header=BB17_9 Depth=1
	v_lshrrev_b32_e32 v3, 5, v3
	v_add_co_u32_e32 v69, vcc, v36, v28
	v_add_u32_e32 v68, 1, v3
	v_addc_co_u32_e32 v71, vcc, v37, v29, vcc
	v_add_co_u32_e32 v72, vcc, v38, v26
	v_and_b32_e32 v70, 0xffffffe, v68
	v_add_u32_e32 v3, 32, v2
	v_addc_co_u32_e32 v73, vcc, v39, v27, vcc
	s_mov_b64 s[66:67], 0
	v_mov_b32_e32 v74, v70
	v_pk_mov_b32 v[4:5], v[2:3], v[2:3] op_sel:[0,1]
.LBB17_82:                              ;   Parent Loop BB17_9 Depth=1
                                        ; =>  This Inner Loop Header: Depth=2
	v_mov_b32_e32 v36, v4
	v_ashrrev_i32_e32 v37, 31, v4
	v_add_co_u32_e32 v52, vcc, v72, v36
	v_mov_b32_e32 v34, v5
	v_addc_co_u32_e32 v53, vcc, v73, v37, vcc
	v_ashrrev_i32_e32 v35, 31, v5
	v_add_co_u32_e32 v54, vcc, v72, v34
	v_addc_co_u32_e32 v55, vcc, v73, v35, vcc
	v_lshlrev_b64 v[36:37], 2, v[36:37]
	v_add_co_u32_e32 v36, vcc, v69, v36
	v_lshlrev_b64 v[34:35], 2, v[34:35]
	v_addc_co_u32_e32 v37, vcc, v71, v37, vcc
	v_add_co_u32_e32 v34, vcc, v69, v34
	v_addc_co_u32_e32 v35, vcc, v71, v35, vcc
	global_load_dword v3, v[34:35], off
	global_load_dword v8, v[36:37], off
	v_mov_b32_e32 v49, v9
	v_mov_b32_e32 v51, v9
	;; [unrolled: 1-line block ×9, first 2 shown]
	v_add_u32_e32 v74, -2, v74
	v_cmp_eq_u32_e64 s[2:3], 0, v74
	v_add_u32_e32 v5, 64, v5
	v_add_u32_e32 v4, 64, v4
	s_waitcnt vmcnt(1)
	v_div_scale_f32 v30, s[4:5], s84, s84, v3
	s_waitcnt vmcnt(0)
	v_div_scale_f32 v34, s[4:5], s77, s77, v8
	v_rcp_f32_e32 v36, v30
	v_rcp_f32_e32 v37, v34
	v_div_scale_f32 v32, vcc, v3, s84, v3
	v_fma_f32 v38, -v30, v36, 1.0
	v_fma_f32 v40, -v34, v37, 1.0
	v_fmac_f32_e32 v36, v38, v36
	v_div_scale_f32 v35, s[4:5], v8, s77, v8
	v_fmac_f32_e32 v37, v40, v37
	v_mul_f32_e32 v38, v32, v36
	v_mul_f32_e32 v40, v35, v37
	v_fma_f32 v42, -v30, v38, v32
	v_fma_f32 v44, -v34, v40, v35
	v_fmac_f32_e32 v38, v42, v36
	v_fmac_f32_e32 v40, v44, v37
	v_fma_f32 v30, -v30, v38, v32
	v_fma_f32 v32, -v34, v40, v35
	v_div_fmas_f32 v30, v30, v36, v38
	s_mov_b64 vcc, s[4:5]
	v_div_fixup_f32 v3, v30, s84, v3
	v_div_fmas_f32 v30, v32, v37, v40
	v_div_fixup_f32 v32, v30, s77, v8
	v_bfe_u32 v34, v3, 23, 8
	v_and_b32_e32 v48, 0x7f800000, v3
	v_and_b32_e32 v50, 0x7fffffff, v3
	;; [unrolled: 1-line block ×3, first 2 shown]
	v_bfe_u32 v35, v32, 23, 8
	v_and_b32_e32 v44, 0x7f800000, v32
	v_cmp_ne_u64_e64 s[6:7], s[52:53], v[48:49]
	v_and_b32_e32 v46, 0x7fffffff, v32
	v_cmp_lt_u64_e64 s[8:9], s[58:59], v[50:51]
	v_cmp_gt_u64_e64 s[10:11], s[54:55], v[50:51]
	v_sub_u32_e32 v38, 0x79, v34
	v_cmp_gt_u32_e64 s[20:21], s94, v34
	v_and_b32_sdwa v75, v3, s93 dst_sel:DWORD dst_unused:UNUSED_PAD src0_sel:BYTE_3 src1_sel:DWORD
	v_cmp_ne_u32_e64 s[4:5], 0, v3
	v_and_b32_e32 v8, 0x7fffff, v32
	v_and_b32_sdwa v76, v32, s93 dst_sel:DWORD dst_unused:UNUSED_PAD src0_sel:BYTE_3 src1_sel:DWORD
	v_cmp_eq_u32_e64 s[12:13], 0, v32
	v_cmp_ne_u32_e64 s[14:15], 0, v32
	v_cmp_eq_u32_e64 s[16:17], 0, v34
	v_or_b32_e32 v40, 0x800000, v30
	v_or_b32_sdwa v42, v32, s95 dst_sel:DWORD dst_unused:UNUSED_PAD src0_sel:BYTE_3 src1_sel:DWORD
	v_cmp_eq_u64_e64 s[18:19], 0, v[30:31]
	v_cmp_ne_u64_e64 s[22:23], s[52:53], v[44:45]
	v_cmp_lt_u64_e64 s[24:25], s[58:59], v[46:47]
	s_and_b64 s[46:47], s[6:7], s[10:11]
	v_sub_u32_e32 v32, 0x79, v35
	v_cndmask_b32_e64 v44, 0, v38, s[20:21]
	s_and_b64 s[88:89], s[6:7], s[8:9]
	v_cmp_gt_u32_e64 s[8:9], s94, v35
	v_cmp_eq_u32_e32 vcc, 0, v3
	v_or_b32_sdwa v3, v3, s95 dst_sel:DWORD dst_unused:UNUSED_PAD src0_sel:BYTE_3 src1_sel:DWORD
	v_or_b32_e32 v36, 0x7e, v75
	v_cmp_eq_u32_e64 s[10:11], 0, v35
	v_or_b32_e32 v45, 0x800000, v8
	v_cndmask_b32_e64 v38, v40, v30, s[16:17]
	v_cmp_eq_u64_e64 s[6:7], 0, v[8:9]
	s_and_b64 s[20:21], s[46:47], s[4:5]
	v_cndmask_b32_e64 v30, 0, v32, s[8:9]
	v_cndmask_b32_e64 v49, v44, v67, s[16:17]
	s_and_b64 s[8:9], s[22:23], s[24:25]
	s_or_b64 s[4:5], s[88:89], s[18:19]
	v_add_u32_e32 v37, 0xffffff81, v34
	v_or_b32_e32 v34, 0x7e, v76
	v_add_u32_e32 v31, 0xffffff81, v35
	v_cndmask_b32_e64 v32, v45, v8, s[10:11]
	v_cndmask_b32_e64 v3, v3, v36, s[4:5]
	s_and_b64 s[4:5], s[46:47], vcc
	v_cndmask_b32_e64 v8, v30, v67, s[10:11]
	v_add_u32_e32 v35, 20, v49
	s_or_b64 vcc, s[8:9], s[6:7]
	v_cndmask_b32_e64 v40, v31, v66, s[10:11]
	v_lshrrev_b64 v[30:31], v49, v[38:39]
	v_cndmask_b32_e32 v39, v42, v34, vcc
	v_add_u32_e32 v42, 20, v8
	v_lshlrev_b64 v[34:35], v35, -1
	v_cmp_gt_u64_e64 s[26:27], s[54:55], v[46:47]
	v_add_u32_e32 v36, 19, v49
	v_lshlrev_b64 v[46:47], v42, -1
	v_not_b32_e32 v42, v34
	v_cndmask_b32_e64 v48, v37, v66, s[16:17]
	v_lshlrev_b64 v[36:37], v36, 1
	v_lshrrev_b64 v[44:45], v8, v[32:33]
	v_lshrrev_b32_e32 v33, 23, v30
	v_bfe_u32 v50, v30, 20, 1
	v_and_b32_e32 v42, v38, v42
	s_and_b64 s[26:27], s[22:23], s[26:27]
	v_add_u32_e32 v35, 19, v8
	v_lshrrev_b32_e32 v47, 23, v44
	v_add3_u32 v33, v49, v48, v33
	v_add_u32_e32 v49, -1, v50
	v_not_b32_e32 v46, v46
	v_cmp_eq_u64_e32 vcc, v[42:43], v[36:37]
	v_cndmask_b32_e64 v3, v3, 0, s[4:5]
	s_and_b64 s[4:5], s[26:27], s[12:13]
	v_lshlrev_b64 v[34:35], v35, 1
	v_bfe_u32 v48, v44, 20, 1
	v_add3_u32 v8, v8, v40, v47
	v_and_b32_e32 v40, v32, v46
	v_cndmask_b32_e32 v32, 0, v49, vcc
	v_cndmask_b32_e64 v39, v39, 0, s[4:5]
	v_add_u32_e32 v47, -1, v48
	v_cmp_eq_u64_e64 s[4:5], v[40:41], v[34:35]
	v_add_u32_e32 v32, v32, v30
	v_add_u32_e32 v38, 6, v33
	;; [unrolled: 1-line block ×3, first 2 shown]
	v_cndmask_b32_e64 v33, 0, v47, s[4:5]
	v_and_b32_e32 v32, 0xfffff, v32
	v_add_u32_e32 v33, v33, v44
	v_add_co_u32_e64 v30, s[6:7], v32, v30
	v_and_b32_e32 v33, 0xfffff, v33
	v_addc_co_u32_e64 v31, s[6:7], 0, v31, s[6:7]
	v_add_co_u32_e64 v32, s[6:7], v33, v44
	v_addc_co_u32_e64 v33, s[6:7], 0, v45, s[6:7]
	v_add_u32_e32 v46, 6, v8
	v_cmp_ne_u32_e32 vcc, 0, v38
	v_cmp_lt_u64_e64 s[6:7], s[56:57], v[30:31]
	s_and_b64 s[14:15], s[26:27], s[14:15]
	v_cmp_ne_u32_e64 s[4:5], 0, v46
	v_cndmask_b32_e64 v34, v38, v48, s[6:7]
	v_bfe_u32 v35, v30, 23, 1
	s_and_b64 vcc, s[20:21], vcc
	v_add_u32_e32 v8, 7, v8
	v_cmp_lt_u64_e64 s[8:9], s[56:57], v[32:33]
	v_cndmask_b32_e32 v34, v35, v34, vcc
	s_and_b64 s[6:7], vcc, s[6:7]
	s_and_b64 vcc, s[14:15], s[4:5]
	v_cndmask_b32_e64 v8, v46, v8, s[8:9]
	v_bfe_u32 v36, v32, 23, 1
	v_cndmask_b32_e64 v35, 0, 1, s[6:7]
	s_and_b64 s[4:5], vcc, s[8:9]
	v_cndmask_b32_e32 v8, v36, v8, vcc
	v_cndmask_b32_e64 v36, 0, 1, s[4:5]
	v_lshrrev_b64 v[30:31], v35, v[30:31]
	v_lshrrev_b64 v[32:33], v36, v[32:33]
	;; [unrolled: 1-line block ×3, first 2 shown]
	v_cmp_gt_i32_e64 s[6:7], 16, v34
	v_lshrrev_b64 v[32:33], 20, v[32:33]
	v_cndmask_b32_e64 v31, 0, v31, s[6:7]
	v_cndmask_b32_e64 v30, 7, v30, s[6:7]
	v_cmp_gt_i32_e64 s[6:7], 16, v8
	v_cmp_eq_u32_e32 vcc, 0, v34
	v_cndmask_b32_e64 v33, 0, v33, s[6:7]
	v_cndmask_b32_e64 v32, 7, v32, s[6:7]
	v_cmp_eq_u64_e64 s[6:7], 0, v[30:31]
	v_cmp_eq_u32_e64 s[4:5], 0, v8
	v_cmp_eq_u64_e64 s[8:9], 0, v[32:33]
	s_and_b64 s[6:7], vcc, s[6:7]
	v_min_i32_e32 v35, 15, v34
	s_and_b64 s[4:5], s[4:5], s[8:9]
	s_and_b64 vcc, s[20:21], s[6:7]
	v_min_i32_e32 v36, 15, v8
	v_lshl_or_b32 v35, v35, 3, v75
	s_xor_b64 s[8:9], s[6:7], -1
	v_cndmask_b32_e32 v3, v3, v75, vcc
	s_and_b64 vcc, s[14:15], s[4:5]
	v_lshl_or_b32 v34, v36, 3, v76
	v_and_or_b32 v8, v30, 7, v35
	s_xor_b64 s[6:7], s[4:5], -1
	v_cndmask_b32_e32 v31, v39, v76, vcc
	s_and_b64 vcc, s[20:21], s[8:9]
	v_and_or_b32 v30, v32, 7, v34
	v_cndmask_b32_e32 v3, v3, v8, vcc
	s_and_b64 vcc, s[14:15], s[6:7]
	v_cndmask_b32_e32 v8, v31, v30, vcc
	s_or_b64 s[66:67], s[2:3], s[66:67]
	global_store_byte v[52:53], v8, off
	global_store_byte v[54:55], v3, off
	s_andn2_b64 exec, exec, s[66:67]
	s_cbranch_execnz .LBB17_82
; %bb.83:                               ;   in Loop: Header=BB17_9 Depth=1
	s_or_b64 exec, exec, s[66:67]
	v_cmp_ne_u32_e32 vcc, v68, v70
	v_lshl_add_u32 v2, v70, 5, v2
	s_orn2_b64 s[2:3], vcc, exec
.LBB17_84:                              ;   in Loop: Header=BB17_9 Depth=1
	s_or_b64 exec, exec, s[64:65]
	s_and_b64 exec, exec, s[2:3]
	s_cbranch_execz .LBB17_103
; %bb.85:                               ;   in Loop: Header=BB17_9 Depth=1
	v_ashrrev_i32_e32 v3, 31, v2
	v_lshlrev_b64 v[4:5], 2, v[2:3]
	v_add_co_u32_e32 v4, vcc, v28, v4
	v_addc_co_u32_e32 v5, vcc, v29, v5, vcc
	v_add_co_u32_e32 v4, vcc, v4, v20
	v_addc_co_u32_e32 v5, vcc, v5, v21, vcc
	v_mov_b32_e32 v8, s79
	v_add_co_u32_e32 v4, vcc, s72, v4
	v_addc_co_u32_e32 v5, vcc, v8, v5, vcc
	v_add_co_u32_e32 v8, vcc, v26, v2
	v_addc_co_u32_e32 v3, vcc, v27, v3, vcc
	;; [unrolled: 2-line block ×3, first 2 shown]
	s_mov_b64 s[4:5], 0
	s_branch .LBB17_87
.LBB17_86:                              ;   in Loop: Header=BB17_87 Depth=2
	s_or_b64 exec, exec, s[2:3]
	v_add_co_u32_e32 v4, vcc, 0x80, v4
	v_add_u32_e32 v2, 32, v2
	v_addc_co_u32_e32 v5, vcc, 0, v5, vcc
	v_cmp_ge_i32_e32 vcc, v2, v23
	global_store_byte v[26:27], v29, off
	s_or_b64 s[4:5], vcc, s[4:5]
	v_add_co_u32_e32 v26, vcc, 32, v26
	v_addc_co_u32_e32 v27, vcc, 0, v27, vcc
	s_andn2_b64 exec, exec, s[4:5]
	s_cbranch_execz .LBB17_103
.LBB17_87:                              ;   Parent Loop BB17_9 Depth=1
                                        ; =>  This Inner Loop Header: Depth=2
	global_load_dword v3, v[4:5], off
	v_mov_b32_e32 v31, v9
	s_waitcnt vmcnt(0)
	v_div_scale_f32 v8, s[2:3], s77, s77, v3
	v_rcp_f32_e32 v28, v8
	v_div_scale_f32 v29, vcc, v3, s77, v3
	v_fma_f32 v30, -v8, v28, 1.0
	v_fmac_f32_e32 v28, v30, v28
	v_mul_f32_e32 v30, v29, v28
	v_fma_f32 v32, -v8, v30, v29
	v_fmac_f32_e32 v30, v32, v28
	v_fma_f32 v8, -v8, v30, v29
	v_div_fmas_f32 v8, v8, v28, v30
	v_div_fixup_f32 v28, v8, s77, v3
	v_and_b32_sdwa v3, v28, s93 dst_sel:DWORD dst_unused:UNUSED_PAD src0_sel:BYTE_3 src1_sel:DWORD
	v_and_b32_e32 v30, 0x7f800000, v28
	v_and_b32_e32 v8, 0x7fffff, v28
	v_or_b32_e32 v29, 0x7e, v3
	v_cmp_ne_u64_e32 vcc, s[52:53], v[30:31]
	s_and_saveexec_b64 s[2:3], vcc
	s_xor_b64 s[6:7], exec, s[2:3]
	s_cbranch_execz .LBB17_101
; %bb.88:                               ;   in Loop: Header=BB17_87 Depth=2
	v_and_b32_e32 v30, 0x7fffffff, v28
	v_mov_b32_e32 v31, v9
	v_cmp_gt_u64_e32 vcc, s[54:55], v[30:31]
	s_and_saveexec_b64 s[2:3], vcc
	s_xor_b64 s[8:9], exec, s[2:3]
	s_cbranch_execz .LBB17_100
; %bb.89:                               ;   in Loop: Header=BB17_87 Depth=2
	v_cmp_ne_u32_e32 vcc, 0, v28
	v_mov_b32_e32 v29, 0
	s_and_saveexec_b64 s[10:11], vcc
	s_cbranch_execz .LBB17_99
; %bb.90:                               ;   in Loop: Header=BB17_87 Depth=2
	v_bfe_u32 v28, v28, 23, 8
	v_sub_u32_e32 v30, 0x79, v28
	v_cmp_gt_u32_e32 vcc, s94, v28
	v_cndmask_b32_e32 v30, 0, v30, vcc
	v_cmp_eq_u32_e32 vcc, 0, v28
	v_cndmask_b32_e32 v30, v30, v67, vcc
	v_add_u32_e32 v29, 0xffffff81, v28
	v_or_b32_e32 v31, 0x800000, v8
	v_add_u32_e32 v28, 20, v30
	v_cndmask_b32_e32 v36, v29, v66, vcc
	v_cndmask_b32_e32 v8, v31, v8, vcc
	v_lshlrev_b64 v[28:29], v28, -1
	v_not_b32_e32 v28, v28
	v_lshrrev_b64 v[34:35], v30, v[8:9]
	v_not_b32_e32 v29, v29
	v_and_b32_e32 v28, v8, v28
	v_add_u32_e32 v31, 19, v30
	v_lshrrev_b32_e32 v8, 23, v34
	v_and_b32_e32 v29, 0, v29
	v_lshlrev_b64 v[32:33], v31, 1
	v_add3_u32 v31, v30, v36, v8
	v_bfe_u32 v8, v34, 20, 1
	v_add_u32_e32 v8, -1, v8
	v_cmp_eq_u64_e32 vcc, v[28:29], v[32:33]
	v_cndmask_b32_e32 v8, 0, v8, vcc
	v_add_u32_e32 v8, v8, v34
	v_and_b32_e32 v8, 0xfffff, v8
	v_add_co_u32_e32 v28, vcc, v8, v34
	v_add_u32_e32 v30, 6, v31
	v_addc_co_u32_e32 v29, vcc, 0, v35, vcc
	v_cmp_ne_u32_e32 vcc, 0, v30
                                        ; implicit-def: $vgpr8
	s_and_saveexec_b64 s[2:3], vcc
	s_xor_b64 s[2:3], exec, s[2:3]
; %bb.91:                               ;   in Loop: Header=BB17_87 Depth=2
	v_add_u32_e32 v8, 7, v31
	v_cmp_lt_u64_e32 vcc, s[56:57], v[28:29]
	v_cndmask_b32_e32 v8, v30, v8, vcc
	v_cndmask_b32_e64 v30, 0, 1, vcc
	v_lshrrev_b64 v[28:29], v30, v[28:29]
; %bb.92:                               ;   in Loop: Header=BB17_87 Depth=2
	s_andn2_saveexec_b64 s[2:3], s[2:3]
; %bb.93:                               ;   in Loop: Header=BB17_87 Depth=2
	v_bfe_u32 v8, v28, 23, 1
; %bb.94:                               ;   in Loop: Header=BB17_87 Depth=2
	s_or_b64 exec, exec, s[2:3]
	v_lshrrev_b64 v[28:29], 20, v[28:29]
	v_cmp_gt_i32_e32 vcc, 16, v8
	v_cndmask_b32_e32 v29, 0, v29, vcc
	v_cndmask_b32_e32 v28, 7, v28, vcc
	v_cmp_ne_u32_e32 vcc, 0, v8
	v_cmp_ne_u64_e64 s[2:3], 0, v[28:29]
	s_or_b64 s[2:3], vcc, s[2:3]
                                        ; implicit-def: $vgpr29
	s_and_saveexec_b64 s[12:13], s[2:3]
	s_xor_b64 s[2:3], exec, s[12:13]
; %bb.95:                               ;   in Loop: Header=BB17_87 Depth=2
	v_min_i32_e32 v8, 15, v8
	v_lshl_or_b32 v3, v8, 3, v3
	v_and_or_b32 v29, v28, 7, v3
                                        ; implicit-def: $vgpr3
; %bb.96:                               ;   in Loop: Header=BB17_87 Depth=2
	s_andn2_saveexec_b64 s[2:3], s[2:3]
; %bb.97:                               ;   in Loop: Header=BB17_87 Depth=2
	v_mov_b32_e32 v29, v3
; %bb.98:                               ;   in Loop: Header=BB17_87 Depth=2
	s_or_b64 exec, exec, s[2:3]
.LBB17_99:                              ;   in Loop: Header=BB17_87 Depth=2
	s_or_b64 exec, exec, s[10:11]
.LBB17_100:                             ;   in Loop: Header=BB17_87 Depth=2
	s_andn2_saveexec_b64 s[2:3], s[8:9]
	s_or_b64 exec, exec, s[2:3]
                                        ; implicit-def: $vgpr28
.LBB17_101:                             ;   in Loop: Header=BB17_87 Depth=2
	s_andn2_saveexec_b64 s[2:3], s[6:7]
	s_cbranch_execz .LBB17_86
; %bb.102:                              ;   in Loop: Header=BB17_87 Depth=2
	v_or_b32_sdwa v3, v28, s95 dst_sel:DWORD dst_unused:UNUSED_PAD src0_sel:BYTE_3 src1_sel:DWORD
	v_cmp_eq_u64_e32 vcc, 0, v[8:9]
	v_cndmask_b32_e32 v29, v3, v29, vcc
	s_branch .LBB17_86
.LBB17_103:                             ;   in Loop: Header=BB17_9 Depth=1
	s_or_b64 exec, exec, s[62:63]
.LBB17_104:                             ;   in Loop: Header=BB17_9 Depth=1
	s_andn2_saveexec_b64 s[4:5], s[60:61]
	s_cbranch_execz .LBB17_157
; %bb.105:                              ;   in Loop: Header=BB17_9 Depth=1
	s_and_saveexec_b64 s[6:7], s[0:1]
	s_cbranch_execz .LBB17_156
; %bb.106:                              ;   in Loop: Header=BB17_9 Depth=1
	v_add_co_u32_e32 v26, vcc, v59, v20
	v_addc_co_u32_e32 v27, vcc, v60, v21, vcc
	s_mov_b64 s[8:9], 0
	v_pk_mov_b32 v[28:29], v[10:11], v[10:11] op_sel:[0,1]
	v_mov_b32_e32 v23, v6
	s_branch .LBB17_108
.LBB17_107:                             ;   in Loop: Header=BB17_108 Depth=2
	s_or_b64 exec, exec, s[2:3]
	v_lshlrev_b32_e32 v3, 16, v4
	v_perm_b32 v2, v2, v3, s70
	v_lshlrev_b32_e32 v3, 8, v31
	v_and_b32_e32 v3, 0xff00, v3
	v_and_b32_e32 v4, 0xff, v30
	v_or3_b32 v2, v2, v3, v4
	global_store_dword v[28:29], v2, off
	v_add_co_u32_e32 v28, vcc, 0x80, v28
	v_add_u32_e32 v23, 32, v23
	v_addc_co_u32_e32 v29, vcc, 0, v29, vcc
	v_add_co_u32_e32 v26, vcc, 0x200, v26
	v_cmp_le_i32_e64 s[2:3], s83, v23
	s_or_b64 s[8:9], s[2:3], s[8:9]
	v_addc_co_u32_e32 v27, vcc, 0, v27, vcc
	s_andn2_b64 exec, exec, s[8:9]
	s_cbranch_execz .LBB17_156
.LBB17_108:                             ;   Parent Loop BB17_9 Depth=1
                                        ; =>  This Inner Loop Header: Depth=2
	global_load_dwordx4 v[2:5], v[26:27], off offset:-8
	v_mov_b32_e32 v33, v9
	s_waitcnt vmcnt(0)
	v_div_scale_f32 v8, s[2:3], s77, s77, v2
	v_rcp_f32_e32 v30, v8
	v_div_scale_f32 v31, vcc, v2, s77, v2
	v_fma_f32 v32, -v8, v30, 1.0
	v_fmac_f32_e32 v30, v32, v30
	v_mul_f32_e32 v32, v31, v30
	v_fma_f32 v34, -v8, v32, v31
	v_fmac_f32_e32 v32, v34, v30
	v_fma_f32 v8, -v8, v32, v31
	v_div_fmas_f32 v8, v8, v30, v32
	v_div_fixup_f32 v31, v8, s77, v2
	v_and_b32_sdwa v2, v31, s93 dst_sel:DWORD dst_unused:UNUSED_PAD src0_sel:BYTE_3 src1_sel:DWORD
	v_and_b32_e32 v32, 0x7f800000, v31
	v_and_b32_e32 v8, 0x7fffff, v31
	v_or_b32_e32 v30, 0x7e, v2
	v_cmp_ne_u64_e32 vcc, s[52:53], v[32:33]
	s_and_saveexec_b64 s[2:3], vcc
	s_xor_b64 s[10:11], exec, s[2:3]
	s_cbranch_execz .LBB17_118
; %bb.109:                              ;   in Loop: Header=BB17_108 Depth=2
	v_and_b32_e32 v32, 0x7fffffff, v31
	v_mov_b32_e32 v33, v9
	v_cmp_gt_u64_e32 vcc, s[54:55], v[32:33]
	s_and_saveexec_b64 s[12:13], vcc
	s_cbranch_execz .LBB17_117
; %bb.110:                              ;   in Loop: Header=BB17_108 Depth=2
	v_cmp_ne_u32_e32 vcc, 0, v31
	v_mov_b32_e32 v30, 0
	s_and_saveexec_b64 s[14:15], vcc
	s_cbranch_execz .LBB17_116
; %bb.111:                              ;   in Loop: Header=BB17_108 Depth=2
	v_bfe_u32 v30, v31, 23, 8
	v_sub_u32_e32 v32, 0x79, v30
	v_cmp_gt_u32_e32 vcc, s94, v30
	v_cndmask_b32_e32 v32, 0, v32, vcc
	v_cmp_eq_u32_e32 vcc, 0, v30
	v_cndmask_b32_e32 v32, v32, v67, vcc
	v_add_u32_e32 v31, 0xffffff81, v30
	v_or_b32_e32 v33, 0x800000, v8
	v_add_u32_e32 v30, 20, v32
	v_cndmask_b32_e32 v38, v31, v66, vcc
	v_cndmask_b32_e32 v8, v33, v8, vcc
	v_lshlrev_b64 v[30:31], v30, -1
	v_not_b32_e32 v30, v30
	v_lshrrev_b64 v[36:37], v32, v[8:9]
	v_not_b32_e32 v31, v31
	v_and_b32_e32 v30, v8, v30
	v_add_u32_e32 v33, 19, v32
	v_lshrrev_b32_e32 v8, 23, v36
	v_and_b32_e32 v31, 0, v31
	v_lshlrev_b64 v[34:35], v33, 1
	v_add3_u32 v33, v32, v38, v8
	v_bfe_u32 v8, v36, 20, 1
	v_add_u32_e32 v8, -1, v8
	v_cmp_eq_u64_e32 vcc, v[30:31], v[34:35]
	v_cndmask_b32_e32 v8, 0, v8, vcc
	v_add_u32_e32 v8, v8, v36
	v_and_b32_e32 v8, 0xfffff, v8
	v_add_co_u32_e32 v30, vcc, v8, v36
	v_add_u32_e32 v32, 6, v33
	v_addc_co_u32_e32 v31, vcc, 0, v37, vcc
	v_cmp_ne_u32_e32 vcc, 0, v32
                                        ; implicit-def: $vgpr8
	s_and_saveexec_b64 s[2:3], vcc
	s_xor_b64 s[2:3], exec, s[2:3]
; %bb.112:                              ;   in Loop: Header=BB17_108 Depth=2
	v_add_u32_e32 v8, 7, v33
	v_cmp_lt_u64_e32 vcc, s[56:57], v[30:31]
	v_cndmask_b32_e32 v8, v32, v8, vcc
	v_cndmask_b32_e64 v32, 0, 1, vcc
	v_lshrrev_b64 v[30:31], v32, v[30:31]
; %bb.113:                              ;   in Loop: Header=BB17_108 Depth=2
	s_andn2_saveexec_b64 s[2:3], s[2:3]
; %bb.114:                              ;   in Loop: Header=BB17_108 Depth=2
	v_bfe_u32 v8, v30, 23, 1
; %bb.115:                              ;   in Loop: Header=BB17_108 Depth=2
	s_or_b64 exec, exec, s[2:3]
	v_lshrrev_b64 v[30:31], 20, v[30:31]
	v_cmp_gt_i32_e32 vcc, 16, v8
	v_cndmask_b32_e32 v31, 0, v31, vcc
	v_cndmask_b32_e32 v30, 7, v30, vcc
	v_cmp_eq_u32_e32 vcc, 0, v8
	v_min_i32_e32 v8, 15, v8
	v_cmp_eq_u64_e64 s[2:3], 0, v[30:31]
	v_lshlrev_b32_e32 v8, 3, v8
	v_and_or_b32 v8, v30, 7, v8
	s_and_b64 s[2:3], vcc, s[2:3]
	v_cndmask_b32_e64 v8, v8, 0, s[2:3]
	v_or_b32_e32 v30, v8, v2
.LBB17_116:                             ;   in Loop: Header=BB17_108 Depth=2
	s_or_b64 exec, exec, s[14:15]
.LBB17_117:                             ;   in Loop: Header=BB17_108 Depth=2
	s_or_b64 exec, exec, s[12:13]
                                        ; implicit-def: $vgpr31
.LBB17_118:                             ;   in Loop: Header=BB17_108 Depth=2
	s_andn2_saveexec_b64 s[2:3], s[10:11]
; %bb.119:                              ;   in Loop: Header=BB17_108 Depth=2
	v_or_b32_sdwa v2, v31, s95 dst_sel:DWORD dst_unused:UNUSED_PAD src0_sel:BYTE_3 src1_sel:DWORD
	v_cmp_eq_u64_e32 vcc, 0, v[8:9]
	v_cndmask_b32_e32 v30, v2, v30, vcc
; %bb.120:                              ;   in Loop: Header=BB17_108 Depth=2
	s_or_b64 exec, exec, s[2:3]
	v_div_scale_f32 v2, s[2:3], s77, s77, v3
	v_rcp_f32_e32 v8, v2
	v_div_scale_f32 v31, vcc, v3, s77, v3
	v_mov_b32_e32 v35, v9
	v_fma_f32 v32, -v2, v8, 1.0
	v_fmac_f32_e32 v8, v32, v8
	v_mul_f32_e32 v32, v31, v8
	v_fma_f32 v33, -v2, v32, v31
	v_fmac_f32_e32 v32, v33, v8
	v_fma_f32 v2, -v2, v32, v31
	v_div_fmas_f32 v2, v2, v8, v32
	v_div_fixup_f32 v2, v2, s77, v3
	v_and_b32_sdwa v32, v2, s93 dst_sel:DWORD dst_unused:UNUSED_PAD src0_sel:BYTE_3 src1_sel:DWORD
	v_and_b32_e32 v34, 0x7f800000, v2
	v_and_b32_e32 v8, 0x7fffff, v2
	v_or_b32_e32 v31, 0x7e, v32
	v_cmp_ne_u64_e32 vcc, s[52:53], v[34:35]
	s_and_saveexec_b64 s[2:3], vcc
	s_xor_b64 s[10:11], exec, s[2:3]
	s_cbranch_execz .LBB17_130
; %bb.121:                              ;   in Loop: Header=BB17_108 Depth=2
	v_and_b32_e32 v34, 0x7fffffff, v2
	v_mov_b32_e32 v35, v9
	v_cmp_gt_u64_e32 vcc, s[54:55], v[34:35]
	s_and_saveexec_b64 s[12:13], vcc
	s_cbranch_execz .LBB17_129
; %bb.122:                              ;   in Loop: Header=BB17_108 Depth=2
	v_cmp_ne_u32_e32 vcc, 0, v2
	v_mov_b32_e32 v31, 0
	s_and_saveexec_b64 s[14:15], vcc
	s_cbranch_execz .LBB17_128
; %bb.123:                              ;   in Loop: Header=BB17_108 Depth=2
	v_bfe_u32 v2, v2, 23, 8
	v_sub_u32_e32 v31, 0x79, v2
	v_cmp_gt_u32_e32 vcc, s94, v2
	v_cndmask_b32_e32 v31, 0, v31, vcc
	v_cmp_eq_u32_e32 vcc, 0, v2
	v_cndmask_b32_e32 v31, v31, v67, vcc
	v_add_u32_e32 v3, 0xffffff81, v2
	v_or_b32_e32 v33, 0x800000, v8
	v_add_u32_e32 v2, 20, v31
	v_cndmask_b32_e32 v38, v3, v66, vcc
	v_cndmask_b32_e32 v8, v33, v8, vcc
	v_lshlrev_b64 v[2:3], v2, -1
	v_not_b32_e32 v2, v2
	v_lshrrev_b64 v[36:37], v31, v[8:9]
	v_not_b32_e32 v3, v3
	v_and_b32_e32 v2, v8, v2
	v_add_u32_e32 v33, 19, v31
	v_lshrrev_b32_e32 v8, 23, v36
	v_and_b32_e32 v3, 0, v3
	v_lshlrev_b64 v[34:35], v33, 1
	v_add3_u32 v33, v31, v38, v8
	v_bfe_u32 v8, v36, 20, 1
	v_add_u32_e32 v8, -1, v8
	v_cmp_eq_u64_e32 vcc, v[2:3], v[34:35]
	v_cndmask_b32_e32 v2, 0, v8, vcc
	v_add_u32_e32 v2, v2, v36
	v_and_b32_e32 v2, 0xfffff, v2
	v_add_co_u32_e32 v2, vcc, v2, v36
	v_add_u32_e32 v31, 6, v33
	v_addc_co_u32_e32 v3, vcc, 0, v37, vcc
	v_cmp_ne_u32_e32 vcc, 0, v31
                                        ; implicit-def: $vgpr8
	s_and_saveexec_b64 s[2:3], vcc
	s_xor_b64 s[2:3], exec, s[2:3]
; %bb.124:                              ;   in Loop: Header=BB17_108 Depth=2
	v_add_u32_e32 v8, 7, v33
	v_cmp_lt_u64_e32 vcc, s[56:57], v[2:3]
	v_cndmask_b32_e32 v8, v31, v8, vcc
	v_cndmask_b32_e64 v31, 0, 1, vcc
	v_lshrrev_b64 v[2:3], v31, v[2:3]
; %bb.125:                              ;   in Loop: Header=BB17_108 Depth=2
	s_andn2_saveexec_b64 s[2:3], s[2:3]
; %bb.126:                              ;   in Loop: Header=BB17_108 Depth=2
	v_bfe_u32 v8, v2, 23, 1
; %bb.127:                              ;   in Loop: Header=BB17_108 Depth=2
	s_or_b64 exec, exec, s[2:3]
	v_lshrrev_b64 v[2:3], 20, v[2:3]
	v_cmp_gt_i32_e32 vcc, 16, v8
	v_cndmask_b32_e32 v3, 0, v3, vcc
	v_cndmask_b32_e32 v2, 7, v2, vcc
	v_cmp_eq_u64_e64 s[2:3], 0, v[2:3]
	v_min_i32_e32 v3, 15, v8
	v_cmp_eq_u32_e32 vcc, 0, v8
	v_lshlrev_b32_e32 v3, 3, v3
	v_and_or_b32 v2, v2, 7, v3
	s_and_b64 s[2:3], vcc, s[2:3]
	v_cndmask_b32_e64 v2, v2, 0, s[2:3]
	v_or_b32_e32 v31, v2, v32
.LBB17_128:                             ;   in Loop: Header=BB17_108 Depth=2
	s_or_b64 exec, exec, s[14:15]
.LBB17_129:                             ;   in Loop: Header=BB17_108 Depth=2
	s_or_b64 exec, exec, s[12:13]
                                        ; implicit-def: $vgpr2
.LBB17_130:                             ;   in Loop: Header=BB17_108 Depth=2
	s_andn2_saveexec_b64 s[2:3], s[10:11]
; %bb.131:                              ;   in Loop: Header=BB17_108 Depth=2
	v_or_b32_sdwa v2, v2, s95 dst_sel:DWORD dst_unused:UNUSED_PAD src0_sel:BYTE_3 src1_sel:DWORD
	v_cmp_eq_u64_e32 vcc, 0, v[8:9]
	v_cndmask_b32_e32 v31, v2, v31, vcc
; %bb.132:                              ;   in Loop: Header=BB17_108 Depth=2
	s_or_b64 exec, exec, s[2:3]
	v_div_scale_f32 v2, s[2:3], s77, s77, v4
	v_rcp_f32_e32 v3, v2
	v_div_scale_f32 v8, vcc, v4, s77, v4
	v_mov_b32_e32 v35, v9
	v_fma_f32 v32, -v2, v3, 1.0
	v_fmac_f32_e32 v3, v32, v3
	v_mul_f32_e32 v32, v8, v3
	v_fma_f32 v33, -v2, v32, v8
	v_fmac_f32_e32 v32, v33, v3
	v_fma_f32 v2, -v2, v32, v8
	v_div_fmas_f32 v2, v2, v3, v32
	v_div_fixup_f32 v2, v2, s77, v4
	v_and_b32_sdwa v32, v2, s93 dst_sel:DWORD dst_unused:UNUSED_PAD src0_sel:BYTE_3 src1_sel:DWORD
	v_and_b32_e32 v34, 0x7f800000, v2
	v_and_b32_e32 v8, 0x7fffff, v2
	v_or_b32_e32 v4, 0x7e, v32
	v_cmp_ne_u64_e32 vcc, s[52:53], v[34:35]
	s_and_saveexec_b64 s[2:3], vcc
	s_xor_b64 s[10:11], exec, s[2:3]
	s_cbranch_execz .LBB17_142
; %bb.133:                              ;   in Loop: Header=BB17_108 Depth=2
	v_and_b32_e32 v34, 0x7fffffff, v2
	v_mov_b32_e32 v35, v9
	v_cmp_gt_u64_e32 vcc, s[54:55], v[34:35]
	s_and_saveexec_b64 s[12:13], vcc
	s_cbranch_execz .LBB17_141
; %bb.134:                              ;   in Loop: Header=BB17_108 Depth=2
	v_cmp_ne_u32_e32 vcc, 0, v2
	v_mov_b32_e32 v4, 0
	s_and_saveexec_b64 s[14:15], vcc
	s_cbranch_execz .LBB17_140
; %bb.135:                              ;   in Loop: Header=BB17_108 Depth=2
	v_bfe_u32 v2, v2, 23, 8
	v_sub_u32_e32 v4, 0x79, v2
	v_cmp_gt_u32_e32 vcc, s94, v2
	v_cndmask_b32_e32 v4, 0, v4, vcc
	v_cmp_eq_u32_e32 vcc, 0, v2
	v_cndmask_b32_e32 v4, v4, v67, vcc
	v_add_u32_e32 v3, 0xffffff81, v2
	v_or_b32_e32 v33, 0x800000, v8
	v_add_u32_e32 v2, 20, v4
	v_cndmask_b32_e32 v38, v3, v66, vcc
	v_cndmask_b32_e32 v8, v33, v8, vcc
	v_lshlrev_b64 v[2:3], v2, -1
	v_not_b32_e32 v2, v2
	v_lshrrev_b64 v[36:37], v4, v[8:9]
	v_not_b32_e32 v3, v3
	v_and_b32_e32 v2, v8, v2
	v_add_u32_e32 v33, 19, v4
	v_lshrrev_b32_e32 v8, 23, v36
	v_and_b32_e32 v3, 0, v3
	v_lshlrev_b64 v[34:35], v33, 1
	v_add3_u32 v33, v4, v38, v8
	v_bfe_u32 v4, v36, 20, 1
	v_add_u32_e32 v4, -1, v4
	v_cmp_eq_u64_e32 vcc, v[2:3], v[34:35]
	v_cndmask_b32_e32 v2, 0, v4, vcc
	v_add_u32_e32 v2, v2, v36
	v_and_b32_e32 v2, 0xfffff, v2
	v_add_co_u32_e32 v2, vcc, v2, v36
	v_add_u32_e32 v8, 6, v33
	v_addc_co_u32_e32 v3, vcc, 0, v37, vcc
	v_cmp_ne_u32_e32 vcc, 0, v8
                                        ; implicit-def: $vgpr4
	s_and_saveexec_b64 s[2:3], vcc
	s_xor_b64 s[2:3], exec, s[2:3]
; %bb.136:                              ;   in Loop: Header=BB17_108 Depth=2
	v_add_u32_e32 v4, 7, v33
	v_cmp_lt_u64_e32 vcc, s[56:57], v[2:3]
	v_cndmask_b32_e32 v4, v8, v4, vcc
	v_cndmask_b32_e64 v8, 0, 1, vcc
	v_lshrrev_b64 v[2:3], v8, v[2:3]
; %bb.137:                              ;   in Loop: Header=BB17_108 Depth=2
	s_andn2_saveexec_b64 s[2:3], s[2:3]
; %bb.138:                              ;   in Loop: Header=BB17_108 Depth=2
	v_bfe_u32 v4, v2, 23, 1
; %bb.139:                              ;   in Loop: Header=BB17_108 Depth=2
	s_or_b64 exec, exec, s[2:3]
	v_lshrrev_b64 v[2:3], 20, v[2:3]
	v_cmp_gt_i32_e32 vcc, 16, v4
	v_cndmask_b32_e32 v3, 0, v3, vcc
	v_cndmask_b32_e32 v2, 7, v2, vcc
	v_cmp_eq_u64_e64 s[2:3], 0, v[2:3]
	v_min_i32_e32 v3, 15, v4
	v_cmp_eq_u32_e32 vcc, 0, v4
	v_lshlrev_b32_e32 v3, 3, v3
	v_and_or_b32 v2, v2, 7, v3
	s_and_b64 s[2:3], vcc, s[2:3]
	v_cndmask_b32_e64 v2, v2, 0, s[2:3]
	v_or_b32_e32 v4, v2, v32
.LBB17_140:                             ;   in Loop: Header=BB17_108 Depth=2
	s_or_b64 exec, exec, s[14:15]
.LBB17_141:                             ;   in Loop: Header=BB17_108 Depth=2
	s_or_b64 exec, exec, s[12:13]
                                        ; implicit-def: $vgpr2
.LBB17_142:                             ;   in Loop: Header=BB17_108 Depth=2
	s_andn2_saveexec_b64 s[2:3], s[10:11]
; %bb.143:                              ;   in Loop: Header=BB17_108 Depth=2
	v_or_b32_sdwa v2, v2, s95 dst_sel:DWORD dst_unused:UNUSED_PAD src0_sel:BYTE_3 src1_sel:DWORD
	v_cmp_eq_u64_e32 vcc, 0, v[8:9]
	v_cndmask_b32_e32 v4, v2, v4, vcc
; %bb.144:                              ;   in Loop: Header=BB17_108 Depth=2
	s_or_b64 exec, exec, s[2:3]
	v_div_scale_f32 v2, s[2:3], s77, s77, v5
	v_rcp_f32_e32 v3, v2
	v_div_scale_f32 v8, vcc, v5, s77, v5
	v_fma_f32 v32, -v2, v3, 1.0
	v_fmac_f32_e32 v3, v32, v3
	v_mul_f32_e32 v32, v8, v3
	v_fma_f32 v33, -v2, v32, v8
	v_fmac_f32_e32 v32, v33, v3
	v_fma_f32 v2, -v2, v32, v8
	v_div_fmas_f32 v2, v2, v3, v32
	v_div_fixup_f32 v3, v2, s77, v5
	v_and_b32_sdwa v5, v3, s93 dst_sel:DWORD dst_unused:UNUSED_PAD src0_sel:BYTE_3 src1_sel:DWORD
	v_and_b32_e32 v32, 0x7f800000, v3
	v_mov_b32_e32 v33, v9
	v_and_b32_e32 v8, 0x7fffff, v3
	v_or_b32_e32 v2, 0x7e, v5
	v_cmp_ne_u64_e32 vcc, s[52:53], v[32:33]
	s_and_saveexec_b64 s[2:3], vcc
	s_xor_b64 s[10:11], exec, s[2:3]
	s_cbranch_execz .LBB17_154
; %bb.145:                              ;   in Loop: Header=BB17_108 Depth=2
	v_and_b32_e32 v32, 0x7fffffff, v3
	v_mov_b32_e32 v33, v9
	v_cmp_gt_u64_e32 vcc, s[54:55], v[32:33]
	s_and_saveexec_b64 s[12:13], vcc
	s_cbranch_execz .LBB17_153
; %bb.146:                              ;   in Loop: Header=BB17_108 Depth=2
	v_cmp_ne_u32_e32 vcc, 0, v3
	v_mov_b32_e32 v2, 0
	s_and_saveexec_b64 s[14:15], vcc
	s_cbranch_execz .LBB17_152
; %bb.147:                              ;   in Loop: Header=BB17_108 Depth=2
	v_bfe_u32 v2, v3, 23, 8
	v_sub_u32_e32 v32, 0x79, v2
	v_cmp_gt_u32_e32 vcc, s94, v2
	v_cndmask_b32_e32 v32, 0, v32, vcc
	v_cmp_eq_u32_e32 vcc, 0, v2
	v_cndmask_b32_e32 v32, v32, v67, vcc
	v_add_u32_e32 v3, 0xffffff81, v2
	v_or_b32_e32 v33, 0x800000, v8
	v_add_u32_e32 v2, 20, v32
	v_cndmask_b32_e32 v38, v3, v66, vcc
	v_cndmask_b32_e32 v8, v33, v8, vcc
	v_lshlrev_b64 v[2:3], v2, -1
	v_not_b32_e32 v2, v2
	v_lshrrev_b64 v[36:37], v32, v[8:9]
	v_not_b32_e32 v3, v3
	v_and_b32_e32 v2, v8, v2
	v_add_u32_e32 v33, 19, v32
	v_lshrrev_b32_e32 v8, 23, v36
	v_and_b32_e32 v3, 0, v3
	v_lshlrev_b64 v[34:35], v33, 1
	v_add3_u32 v33, v32, v38, v8
	v_bfe_u32 v8, v36, 20, 1
	v_add_u32_e32 v8, -1, v8
	v_cmp_eq_u64_e32 vcc, v[2:3], v[34:35]
	v_cndmask_b32_e32 v2, 0, v8, vcc
	v_add_u32_e32 v2, v2, v36
	v_and_b32_e32 v2, 0xfffff, v2
	v_add_co_u32_e32 v2, vcc, v2, v36
	v_add_u32_e32 v32, 6, v33
	v_addc_co_u32_e32 v3, vcc, 0, v37, vcc
	v_cmp_ne_u32_e32 vcc, 0, v32
                                        ; implicit-def: $vgpr8
	s_and_saveexec_b64 s[2:3], vcc
	s_xor_b64 s[2:3], exec, s[2:3]
; %bb.148:                              ;   in Loop: Header=BB17_108 Depth=2
	v_add_u32_e32 v8, 7, v33
	v_cmp_lt_u64_e32 vcc, s[56:57], v[2:3]
	v_cndmask_b32_e32 v8, v32, v8, vcc
	v_cndmask_b32_e64 v32, 0, 1, vcc
	v_lshrrev_b64 v[2:3], v32, v[2:3]
; %bb.149:                              ;   in Loop: Header=BB17_108 Depth=2
	s_andn2_saveexec_b64 s[2:3], s[2:3]
; %bb.150:                              ;   in Loop: Header=BB17_108 Depth=2
	v_bfe_u32 v8, v2, 23, 1
; %bb.151:                              ;   in Loop: Header=BB17_108 Depth=2
	s_or_b64 exec, exec, s[2:3]
	v_lshrrev_b64 v[2:3], 20, v[2:3]
	v_cmp_gt_i32_e32 vcc, 16, v8
	v_cndmask_b32_e32 v3, 0, v3, vcc
	v_cndmask_b32_e32 v2, 7, v2, vcc
	v_cmp_eq_u64_e64 s[2:3], 0, v[2:3]
	v_min_i32_e32 v3, 15, v8
	v_cmp_eq_u32_e32 vcc, 0, v8
	v_lshlrev_b32_e32 v3, 3, v3
	v_and_or_b32 v2, v2, 7, v3
	s_and_b64 s[2:3], vcc, s[2:3]
	v_cndmask_b32_e64 v2, v2, 0, s[2:3]
	v_or_b32_e32 v2, v2, v5
.LBB17_152:                             ;   in Loop: Header=BB17_108 Depth=2
	s_or_b64 exec, exec, s[14:15]
.LBB17_153:                             ;   in Loop: Header=BB17_108 Depth=2
	s_or_b64 exec, exec, s[12:13]
                                        ; implicit-def: $vgpr3
.LBB17_154:                             ;   in Loop: Header=BB17_108 Depth=2
	s_andn2_saveexec_b64 s[2:3], s[10:11]
	s_cbranch_execz .LBB17_107
; %bb.155:                              ;   in Loop: Header=BB17_108 Depth=2
	v_or_b32_sdwa v3, v3, s95 dst_sel:DWORD dst_unused:UNUSED_PAD src0_sel:BYTE_3 src1_sel:DWORD
	v_cmp_eq_u64_e32 vcc, 0, v[8:9]
	v_cndmask_b32_e32 v2, v3, v2, vcc
	s_branch .LBB17_107
.LBB17_156:                             ;   in Loop: Header=BB17_9 Depth=1
	s_or_b64 exec, exec, s[6:7]
.LBB17_157:                             ;   in Loop: Header=BB17_9 Depth=1
	s_or_b64 exec, exec, s[4:5]
	v_mov_b32_e32 v2, s74
	v_add_co_u32_e32 v32, vcc, s73, v24
	v_addc_co_u32_e32 v33, vcc, v2, v25, vcc
	v_and_b32_e32 v8, 15, v32
	v_cmp_ne_u64_e32 vcc, 0, v[8:9]
	s_or_b64 s[2:3], s[50:51], vcc
	s_and_saveexec_b64 s[4:5], s[2:3]
	s_xor_b64 s[60:61], exec, s[4:5]
	s_cbranch_execz .LBB17_252
; %bb.158:                              ;   in Loop: Header=BB17_9 Depth=1
	v_mov_b32_e32 v2, s76
	v_add_co_u32_e32 v34, vcc, s75, v22
	v_addc_co_u32_e32 v35, vcc, v2, v13, vcc
	v_sub_u32_e32 v2, 0, v32
	v_bfe_u32 v2, v2, 2, 2
	v_min_i32_e32 v22, s45, v2
	v_cmp_gt_i32_e32 vcc, v22, v6
	s_and_saveexec_b64 s[4:5], vcc
	s_cbranch_execz .LBB17_176
; %bb.159:                              ;   in Loop: Header=BB17_9 Depth=1
	v_lshlrev_b32_e32 v2, 2, v6
	v_add_co_u32_e32 v2, vcc, v32, v2
	v_addc_co_u32_e32 v3, vcc, 0, v33, vcc
	global_load_dword v2, v[2:3], off
	v_mov_b32_e32 v25, v9
	s_waitcnt vmcnt(0)
	v_div_scale_f32 v3, s[2:3], s33, s33, v2
	v_rcp_f32_e32 v4, v3
	v_div_scale_f32 v5, vcc, v2, s33, v2
	v_fma_f32 v8, -v3, v4, 1.0
	v_fmac_f32_e32 v4, v8, v4
	v_mul_f32_e32 v8, v5, v4
	v_fma_f32 v13, -v3, v8, v5
	v_fmac_f32_e32 v8, v13, v4
	v_fma_f32 v3, -v3, v8, v5
	v_div_fmas_f32 v3, v3, v4, v8
	v_div_fixup_f32 v2, v3, s33, v2
	v_and_b32_sdwa v4, v2, s93 dst_sel:DWORD dst_unused:UNUSED_PAD src0_sel:BYTE_3 src1_sel:DWORD
	v_and_b32_e32 v24, 0x7f800000, v2
	v_and_b32_e32 v8, 0x7fffff, v2
	v_or_b32_e32 v3, 0x7e, v4
	v_cmp_ne_u64_e32 vcc, s[52:53], v[24:25]
	s_and_saveexec_b64 s[2:3], vcc
	s_xor_b64 s[6:7], exec, s[2:3]
	s_cbranch_execz .LBB17_173
; %bb.160:                              ;   in Loop: Header=BB17_9 Depth=1
	v_and_b32_e32 v24, 0x7fffffff, v2
	v_mov_b32_e32 v25, v9
	v_cmp_gt_u64_e32 vcc, s[54:55], v[24:25]
	s_and_saveexec_b64 s[2:3], vcc
	s_xor_b64 s[8:9], exec, s[2:3]
	s_cbranch_execz .LBB17_172
; %bb.161:                              ;   in Loop: Header=BB17_9 Depth=1
	v_cmp_ne_u32_e32 vcc, 0, v2
	v_mov_b32_e32 v3, 0
	s_and_saveexec_b64 s[10:11], vcc
	s_cbranch_execz .LBB17_171
; %bb.162:                              ;   in Loop: Header=BB17_9 Depth=1
	v_bfe_u32 v2, v2, 23, 8
	v_sub_u32_e32 v5, 0x79, v2
	v_cmp_gt_u32_e32 vcc, s94, v2
	v_cndmask_b32_e32 v5, 0, v5, vcc
	v_cmp_eq_u32_e32 vcc, 0, v2
	v_cndmask_b32_e32 v5, v5, v67, vcc
	v_add_u32_e32 v3, 0xffffff81, v2
	v_or_b32_e32 v13, 0x800000, v8
	v_add_u32_e32 v2, 20, v5
	v_cndmask_b32_e32 v23, v3, v66, vcc
	v_cndmask_b32_e32 v8, v13, v8, vcc
	v_lshlrev_b64 v[2:3], v2, -1
	v_not_b32_e32 v2, v2
	v_lshrrev_b64 v[26:27], v5, v[8:9]
	v_not_b32_e32 v3, v3
	v_and_b32_e32 v2, v8, v2
	v_add_u32_e32 v13, 19, v5
	v_lshrrev_b32_e32 v8, 23, v26
	v_and_b32_e32 v3, 0, v3
	v_lshlrev_b64 v[24:25], v13, 1
	v_add3_u32 v13, v5, v23, v8
	v_bfe_u32 v5, v26, 20, 1
	v_add_u32_e32 v5, -1, v5
	v_cmp_eq_u64_e32 vcc, v[2:3], v[24:25]
	v_cndmask_b32_e32 v2, 0, v5, vcc
	v_add_u32_e32 v2, v2, v26
	v_and_b32_e32 v2, 0xfffff, v2
	v_add_co_u32_e32 v2, vcc, v2, v26
	v_add_u32_e32 v8, 6, v13
	v_addc_co_u32_e32 v3, vcc, 0, v27, vcc
	v_cmp_ne_u32_e32 vcc, 0, v8
                                        ; implicit-def: $vgpr5
	s_and_saveexec_b64 s[2:3], vcc
	s_xor_b64 s[2:3], exec, s[2:3]
; %bb.163:                              ;   in Loop: Header=BB17_9 Depth=1
	v_add_u32_e32 v5, 7, v13
	v_cmp_lt_u64_e32 vcc, s[56:57], v[2:3]
	v_cndmask_b32_e32 v5, v8, v5, vcc
	v_cndmask_b32_e64 v8, 0, 1, vcc
	v_lshrrev_b64 v[2:3], v8, v[2:3]
; %bb.164:                              ;   in Loop: Header=BB17_9 Depth=1
	s_andn2_saveexec_b64 s[2:3], s[2:3]
; %bb.165:                              ;   in Loop: Header=BB17_9 Depth=1
	v_bfe_u32 v5, v2, 23, 1
; %bb.166:                              ;   in Loop: Header=BB17_9 Depth=1
	s_or_b64 exec, exec, s[2:3]
	v_lshrrev_b64 v[2:3], 20, v[2:3]
	v_cmp_gt_i32_e32 vcc, 16, v5
	v_cndmask_b32_e32 v3, 0, v3, vcc
	v_cndmask_b32_e32 v2, 7, v2, vcc
	v_cmp_ne_u32_e32 vcc, 0, v5
	v_cmp_ne_u64_e64 s[2:3], 0, v[2:3]
	s_or_b64 s[2:3], vcc, s[2:3]
                                        ; implicit-def: $vgpr3
	s_and_saveexec_b64 s[12:13], s[2:3]
	s_xor_b64 s[2:3], exec, s[12:13]
; %bb.167:                              ;   in Loop: Header=BB17_9 Depth=1
	v_min_i32_e32 v3, 15, v5
	v_lshl_or_b32 v3, v3, 3, v4
	v_and_or_b32 v3, v2, 7, v3
                                        ; implicit-def: $vgpr4
; %bb.168:                              ;   in Loop: Header=BB17_9 Depth=1
	s_andn2_saveexec_b64 s[2:3], s[2:3]
; %bb.169:                              ;   in Loop: Header=BB17_9 Depth=1
	v_mov_b32_e32 v3, v4
; %bb.170:                              ;   in Loop: Header=BB17_9 Depth=1
	s_or_b64 exec, exec, s[2:3]
.LBB17_171:                             ;   in Loop: Header=BB17_9 Depth=1
	s_or_b64 exec, exec, s[10:11]
.LBB17_172:                             ;   in Loop: Header=BB17_9 Depth=1
	s_andn2_saveexec_b64 s[2:3], s[8:9]
	s_or_b64 exec, exec, s[2:3]
                                        ; implicit-def: $vgpr2
.LBB17_173:                             ;   in Loop: Header=BB17_9 Depth=1
	s_andn2_saveexec_b64 s[2:3], s[6:7]
; %bb.174:                              ;   in Loop: Header=BB17_9 Depth=1
	v_or_b32_sdwa v2, v2, s95 dst_sel:DWORD dst_unused:UNUSED_PAD src0_sel:BYTE_3 src1_sel:DWORD
	v_cmp_eq_u64_e32 vcc, 0, v[8:9]
	v_cndmask_b32_e32 v3, v2, v3, vcc
; %bb.175:                              ;   in Loop: Header=BB17_9 Depth=1
	s_or_b64 exec, exec, s[2:3]
	v_add_co_u32_e32 v4, vcc, v34, v6
	v_addc_co_u32_e32 v5, vcc, 0, v35, vcc
	global_store_byte v[4:5], v3, off
.LBB17_176:                             ;   in Loop: Header=BB17_9 Depth=1
	s_or_b64 exec, exec, s[4:5]
	v_sub_u32_e32 v13, s45, v22
	v_ashrrev_i32_e32 v2, 31, v13
	v_lshrrev_b32_e32 v2, 30, v2
	v_add_u32_e32 v2, v13, v2
	v_ashrrev_i32_e32 v23, 31, v22
	v_ashrrev_i32_e32 v36, 2, v2
	v_cmp_gt_i32_e32 vcc, v36, v6
	v_lshlrev_b64 v[24:25], 2, v[22:23]
	s_and_saveexec_b64 s[4:5], vcc
	s_cbranch_execz .LBB17_227
; %bb.177:                              ;   in Loop: Header=BB17_9 Depth=1
	v_add_co_u32_e32 v26, vcc, v16, v22
	v_addc_co_u32_e32 v27, vcc, v17, v23, vcc
	v_add_co_u32_e32 v2, vcc, v24, v20
	v_addc_co_u32_e32 v3, vcc, v25, v21, vcc
	;; [unrolled: 2-line block ×3, first 2 shown]
	s_mov_b64 s[6:7], 0
	v_mov_b32_e32 v37, v6
	s_branch .LBB17_179
.LBB17_178:                             ;   in Loop: Header=BB17_179 Depth=2
	s_or_b64 exec, exec, s[2:3]
	v_lshlrev_b32_e32 v3, 16, v4
	v_perm_b32 v2, v2, v3, s70
	v_lshlrev_b32_e32 v3, 8, v31
	v_and_b32_e32 v3, 0xff00, v3
	v_and_b32_e32 v4, 0xff, v30
	v_or3_b32 v2, v2, v3, v4
	global_store_dword v[26:27], v2, off
	v_add_co_u32_e32 v26, vcc, 0x80, v26
	v_add_u32_e32 v37, 32, v37
	v_addc_co_u32_e32 v27, vcc, 0, v27, vcc
	v_add_co_u32_e32 v28, vcc, 0x200, v28
	v_cmp_ge_i32_e64 s[2:3], v37, v36
	s_or_b64 s[6:7], s[2:3], s[6:7]
	v_addc_co_u32_e32 v29, vcc, 0, v29, vcc
	s_andn2_b64 exec, exec, s[6:7]
	s_cbranch_execz .LBB17_227
.LBB17_179:                             ;   Parent Loop BB17_9 Depth=1
                                        ; =>  This Inner Loop Header: Depth=2
	global_load_dwordx4 v[2:5], v[28:29], off
	v_mov_b32_e32 v39, v9
	s_waitcnt vmcnt(0)
	v_div_scale_f32 v8, s[2:3], s33, s33, v2
	v_rcp_f32_e32 v30, v8
	v_div_scale_f32 v31, vcc, v2, s33, v2
	v_fma_f32 v38, -v8, v30, 1.0
	v_fmac_f32_e32 v30, v38, v30
	v_mul_f32_e32 v38, v31, v30
	v_fma_f32 v40, -v8, v38, v31
	v_fmac_f32_e32 v38, v40, v30
	v_fma_f32 v8, -v8, v38, v31
	v_div_fmas_f32 v8, v8, v30, v38
	v_div_fixup_f32 v31, v8, s33, v2
	v_and_b32_sdwa v2, v31, s93 dst_sel:DWORD dst_unused:UNUSED_PAD src0_sel:BYTE_3 src1_sel:DWORD
	v_and_b32_e32 v38, 0x7f800000, v31
	v_and_b32_e32 v8, 0x7fffff, v31
	v_or_b32_e32 v30, 0x7e, v2
	v_cmp_ne_u64_e32 vcc, s[52:53], v[38:39]
	s_and_saveexec_b64 s[2:3], vcc
	s_xor_b64 s[8:9], exec, s[2:3]
	s_cbranch_execz .LBB17_189
; %bb.180:                              ;   in Loop: Header=BB17_179 Depth=2
	v_and_b32_e32 v38, 0x7fffffff, v31
	v_mov_b32_e32 v39, v9
	v_cmp_gt_u64_e32 vcc, s[54:55], v[38:39]
	s_and_saveexec_b64 s[10:11], vcc
	s_cbranch_execz .LBB17_188
; %bb.181:                              ;   in Loop: Header=BB17_179 Depth=2
	v_cmp_ne_u32_e32 vcc, 0, v31
	v_mov_b32_e32 v30, 0
	s_and_saveexec_b64 s[12:13], vcc
	s_cbranch_execz .LBB17_187
; %bb.182:                              ;   in Loop: Header=BB17_179 Depth=2
	v_bfe_u32 v30, v31, 23, 8
	v_sub_u32_e32 v38, 0x79, v30
	v_cmp_gt_u32_e32 vcc, s94, v30
	v_cndmask_b32_e32 v38, 0, v38, vcc
	v_cmp_eq_u32_e32 vcc, 0, v30
	v_cndmask_b32_e32 v38, v38, v67, vcc
	v_add_u32_e32 v31, 0xffffff81, v30
	v_or_b32_e32 v39, 0x800000, v8
	v_add_u32_e32 v30, 20, v38
	v_cndmask_b32_e32 v44, v31, v66, vcc
	v_cndmask_b32_e32 v8, v39, v8, vcc
	v_lshlrev_b64 v[30:31], v30, -1
	v_not_b32_e32 v30, v30
	v_lshrrev_b64 v[42:43], v38, v[8:9]
	v_not_b32_e32 v31, v31
	v_and_b32_e32 v30, v8, v30
	v_add_u32_e32 v39, 19, v38
	v_lshrrev_b32_e32 v8, 23, v42
	v_and_b32_e32 v31, 0, v31
	v_lshlrev_b64 v[40:41], v39, 1
	v_add3_u32 v39, v38, v44, v8
	v_bfe_u32 v8, v42, 20, 1
	v_add_u32_e32 v8, -1, v8
	v_cmp_eq_u64_e32 vcc, v[30:31], v[40:41]
	v_cndmask_b32_e32 v8, 0, v8, vcc
	v_add_u32_e32 v8, v8, v42
	v_and_b32_e32 v8, 0xfffff, v8
	v_add_co_u32_e32 v30, vcc, v8, v42
	v_add_u32_e32 v38, 6, v39
	v_addc_co_u32_e32 v31, vcc, 0, v43, vcc
	v_cmp_ne_u32_e32 vcc, 0, v38
                                        ; implicit-def: $vgpr8
	s_and_saveexec_b64 s[2:3], vcc
	s_xor_b64 s[2:3], exec, s[2:3]
; %bb.183:                              ;   in Loop: Header=BB17_179 Depth=2
	v_add_u32_e32 v8, 7, v39
	v_cmp_lt_u64_e32 vcc, s[56:57], v[30:31]
	v_cndmask_b32_e32 v8, v38, v8, vcc
	v_cndmask_b32_e64 v38, 0, 1, vcc
	v_lshrrev_b64 v[30:31], v38, v[30:31]
; %bb.184:                              ;   in Loop: Header=BB17_179 Depth=2
	s_andn2_saveexec_b64 s[2:3], s[2:3]
; %bb.185:                              ;   in Loop: Header=BB17_179 Depth=2
	v_bfe_u32 v8, v30, 23, 1
; %bb.186:                              ;   in Loop: Header=BB17_179 Depth=2
	s_or_b64 exec, exec, s[2:3]
	v_lshrrev_b64 v[30:31], 20, v[30:31]
	v_cmp_gt_i32_e32 vcc, 16, v8
	v_cndmask_b32_e32 v31, 0, v31, vcc
	v_cndmask_b32_e32 v30, 7, v30, vcc
	v_cmp_eq_u32_e32 vcc, 0, v8
	v_min_i32_e32 v8, 15, v8
	v_cmp_eq_u64_e64 s[2:3], 0, v[30:31]
	v_lshlrev_b32_e32 v8, 3, v8
	v_and_or_b32 v8, v30, 7, v8
	s_and_b64 s[2:3], vcc, s[2:3]
	v_cndmask_b32_e64 v8, v8, 0, s[2:3]
	v_or_b32_e32 v30, v8, v2
.LBB17_187:                             ;   in Loop: Header=BB17_179 Depth=2
	s_or_b64 exec, exec, s[12:13]
.LBB17_188:                             ;   in Loop: Header=BB17_179 Depth=2
	s_or_b64 exec, exec, s[10:11]
                                        ; implicit-def: $vgpr31
.LBB17_189:                             ;   in Loop: Header=BB17_179 Depth=2
	s_andn2_saveexec_b64 s[2:3], s[8:9]
; %bb.190:                              ;   in Loop: Header=BB17_179 Depth=2
	v_or_b32_sdwa v2, v31, s95 dst_sel:DWORD dst_unused:UNUSED_PAD src0_sel:BYTE_3 src1_sel:DWORD
	v_cmp_eq_u64_e32 vcc, 0, v[8:9]
	v_cndmask_b32_e32 v30, v2, v30, vcc
; %bb.191:                              ;   in Loop: Header=BB17_179 Depth=2
	s_or_b64 exec, exec, s[2:3]
	v_div_scale_f32 v2, s[2:3], s33, s33, v3
	v_rcp_f32_e32 v8, v2
	v_div_scale_f32 v31, vcc, v3, s33, v3
	v_mov_b32_e32 v41, v9
	v_fma_f32 v38, -v2, v8, 1.0
	v_fmac_f32_e32 v8, v38, v8
	v_mul_f32_e32 v38, v31, v8
	v_fma_f32 v39, -v2, v38, v31
	v_fmac_f32_e32 v38, v39, v8
	v_fma_f32 v2, -v2, v38, v31
	v_div_fmas_f32 v2, v2, v8, v38
	v_div_fixup_f32 v2, v2, s33, v3
	v_and_b32_sdwa v38, v2, s93 dst_sel:DWORD dst_unused:UNUSED_PAD src0_sel:BYTE_3 src1_sel:DWORD
	v_and_b32_e32 v40, 0x7f800000, v2
	v_and_b32_e32 v8, 0x7fffff, v2
	v_or_b32_e32 v31, 0x7e, v38
	v_cmp_ne_u64_e32 vcc, s[52:53], v[40:41]
	s_and_saveexec_b64 s[2:3], vcc
	s_xor_b64 s[8:9], exec, s[2:3]
	s_cbranch_execz .LBB17_201
; %bb.192:                              ;   in Loop: Header=BB17_179 Depth=2
	v_and_b32_e32 v40, 0x7fffffff, v2
	v_mov_b32_e32 v41, v9
	v_cmp_gt_u64_e32 vcc, s[54:55], v[40:41]
	s_and_saveexec_b64 s[10:11], vcc
	s_cbranch_execz .LBB17_200
; %bb.193:                              ;   in Loop: Header=BB17_179 Depth=2
	v_cmp_ne_u32_e32 vcc, 0, v2
	v_mov_b32_e32 v31, 0
	s_and_saveexec_b64 s[12:13], vcc
	s_cbranch_execz .LBB17_199
; %bb.194:                              ;   in Loop: Header=BB17_179 Depth=2
	v_bfe_u32 v2, v2, 23, 8
	v_sub_u32_e32 v31, 0x79, v2
	v_cmp_gt_u32_e32 vcc, s94, v2
	v_cndmask_b32_e32 v31, 0, v31, vcc
	v_cmp_eq_u32_e32 vcc, 0, v2
	v_cndmask_b32_e32 v31, v31, v67, vcc
	v_add_u32_e32 v3, 0xffffff81, v2
	v_or_b32_e32 v39, 0x800000, v8
	v_add_u32_e32 v2, 20, v31
	v_cndmask_b32_e32 v44, v3, v66, vcc
	v_cndmask_b32_e32 v8, v39, v8, vcc
	v_lshlrev_b64 v[2:3], v2, -1
	v_not_b32_e32 v2, v2
	v_lshrrev_b64 v[42:43], v31, v[8:9]
	v_not_b32_e32 v3, v3
	v_and_b32_e32 v2, v8, v2
	v_add_u32_e32 v39, 19, v31
	v_lshrrev_b32_e32 v8, 23, v42
	v_and_b32_e32 v3, 0, v3
	v_lshlrev_b64 v[40:41], v39, 1
	v_add3_u32 v39, v31, v44, v8
	v_bfe_u32 v8, v42, 20, 1
	v_add_u32_e32 v8, -1, v8
	v_cmp_eq_u64_e32 vcc, v[2:3], v[40:41]
	v_cndmask_b32_e32 v2, 0, v8, vcc
	v_add_u32_e32 v2, v2, v42
	v_and_b32_e32 v2, 0xfffff, v2
	v_add_co_u32_e32 v2, vcc, v2, v42
	v_add_u32_e32 v31, 6, v39
	v_addc_co_u32_e32 v3, vcc, 0, v43, vcc
	v_cmp_ne_u32_e32 vcc, 0, v31
                                        ; implicit-def: $vgpr8
	s_and_saveexec_b64 s[2:3], vcc
	s_xor_b64 s[2:3], exec, s[2:3]
; %bb.195:                              ;   in Loop: Header=BB17_179 Depth=2
	v_add_u32_e32 v8, 7, v39
	v_cmp_lt_u64_e32 vcc, s[56:57], v[2:3]
	v_cndmask_b32_e32 v8, v31, v8, vcc
	v_cndmask_b32_e64 v31, 0, 1, vcc
	v_lshrrev_b64 v[2:3], v31, v[2:3]
; %bb.196:                              ;   in Loop: Header=BB17_179 Depth=2
	s_andn2_saveexec_b64 s[2:3], s[2:3]
; %bb.197:                              ;   in Loop: Header=BB17_179 Depth=2
	v_bfe_u32 v8, v2, 23, 1
; %bb.198:                              ;   in Loop: Header=BB17_179 Depth=2
	s_or_b64 exec, exec, s[2:3]
	v_lshrrev_b64 v[2:3], 20, v[2:3]
	v_cmp_gt_i32_e32 vcc, 16, v8
	v_cndmask_b32_e32 v3, 0, v3, vcc
	v_cndmask_b32_e32 v2, 7, v2, vcc
	v_cmp_eq_u64_e64 s[2:3], 0, v[2:3]
	v_min_i32_e32 v3, 15, v8
	v_cmp_eq_u32_e32 vcc, 0, v8
	v_lshlrev_b32_e32 v3, 3, v3
	v_and_or_b32 v2, v2, 7, v3
	s_and_b64 s[2:3], vcc, s[2:3]
	v_cndmask_b32_e64 v2, v2, 0, s[2:3]
	v_or_b32_e32 v31, v2, v38
.LBB17_199:                             ;   in Loop: Header=BB17_179 Depth=2
	s_or_b64 exec, exec, s[12:13]
.LBB17_200:                             ;   in Loop: Header=BB17_179 Depth=2
	s_or_b64 exec, exec, s[10:11]
                                        ; implicit-def: $vgpr2
.LBB17_201:                             ;   in Loop: Header=BB17_179 Depth=2
	s_andn2_saveexec_b64 s[2:3], s[8:9]
; %bb.202:                              ;   in Loop: Header=BB17_179 Depth=2
	v_or_b32_sdwa v2, v2, s95 dst_sel:DWORD dst_unused:UNUSED_PAD src0_sel:BYTE_3 src1_sel:DWORD
	v_cmp_eq_u64_e32 vcc, 0, v[8:9]
	v_cndmask_b32_e32 v31, v2, v31, vcc
; %bb.203:                              ;   in Loop: Header=BB17_179 Depth=2
	s_or_b64 exec, exec, s[2:3]
	v_div_scale_f32 v2, s[2:3], s33, s33, v4
	v_rcp_f32_e32 v3, v2
	v_div_scale_f32 v8, vcc, v4, s33, v4
	v_mov_b32_e32 v41, v9
	v_fma_f32 v38, -v2, v3, 1.0
	v_fmac_f32_e32 v3, v38, v3
	v_mul_f32_e32 v38, v8, v3
	v_fma_f32 v39, -v2, v38, v8
	v_fmac_f32_e32 v38, v39, v3
	v_fma_f32 v2, -v2, v38, v8
	v_div_fmas_f32 v2, v2, v3, v38
	v_div_fixup_f32 v2, v2, s33, v4
	v_and_b32_sdwa v38, v2, s93 dst_sel:DWORD dst_unused:UNUSED_PAD src0_sel:BYTE_3 src1_sel:DWORD
	v_and_b32_e32 v40, 0x7f800000, v2
	v_and_b32_e32 v8, 0x7fffff, v2
	v_or_b32_e32 v4, 0x7e, v38
	v_cmp_ne_u64_e32 vcc, s[52:53], v[40:41]
	s_and_saveexec_b64 s[2:3], vcc
	s_xor_b64 s[8:9], exec, s[2:3]
	s_cbranch_execz .LBB17_213
; %bb.204:                              ;   in Loop: Header=BB17_179 Depth=2
	v_and_b32_e32 v40, 0x7fffffff, v2
	v_mov_b32_e32 v41, v9
	v_cmp_gt_u64_e32 vcc, s[54:55], v[40:41]
	s_and_saveexec_b64 s[10:11], vcc
	s_cbranch_execz .LBB17_212
; %bb.205:                              ;   in Loop: Header=BB17_179 Depth=2
	v_cmp_ne_u32_e32 vcc, 0, v2
	v_mov_b32_e32 v4, 0
	s_and_saveexec_b64 s[12:13], vcc
	s_cbranch_execz .LBB17_211
; %bb.206:                              ;   in Loop: Header=BB17_179 Depth=2
	v_bfe_u32 v2, v2, 23, 8
	v_sub_u32_e32 v4, 0x79, v2
	v_cmp_gt_u32_e32 vcc, s94, v2
	v_cndmask_b32_e32 v4, 0, v4, vcc
	v_cmp_eq_u32_e32 vcc, 0, v2
	v_cndmask_b32_e32 v4, v4, v67, vcc
	v_add_u32_e32 v3, 0xffffff81, v2
	v_or_b32_e32 v39, 0x800000, v8
	v_add_u32_e32 v2, 20, v4
	v_cndmask_b32_e32 v44, v3, v66, vcc
	v_cndmask_b32_e32 v8, v39, v8, vcc
	v_lshlrev_b64 v[2:3], v2, -1
	v_not_b32_e32 v2, v2
	v_lshrrev_b64 v[42:43], v4, v[8:9]
	v_not_b32_e32 v3, v3
	v_and_b32_e32 v2, v8, v2
	v_add_u32_e32 v39, 19, v4
	v_lshrrev_b32_e32 v8, 23, v42
	v_and_b32_e32 v3, 0, v3
	v_lshlrev_b64 v[40:41], v39, 1
	v_add3_u32 v39, v4, v44, v8
	v_bfe_u32 v4, v42, 20, 1
	v_add_u32_e32 v4, -1, v4
	v_cmp_eq_u64_e32 vcc, v[2:3], v[40:41]
	v_cndmask_b32_e32 v2, 0, v4, vcc
	v_add_u32_e32 v2, v2, v42
	v_and_b32_e32 v2, 0xfffff, v2
	v_add_co_u32_e32 v2, vcc, v2, v42
	v_add_u32_e32 v8, 6, v39
	v_addc_co_u32_e32 v3, vcc, 0, v43, vcc
	v_cmp_ne_u32_e32 vcc, 0, v8
                                        ; implicit-def: $vgpr4
	s_and_saveexec_b64 s[2:3], vcc
	s_xor_b64 s[2:3], exec, s[2:3]
; %bb.207:                              ;   in Loop: Header=BB17_179 Depth=2
	v_add_u32_e32 v4, 7, v39
	v_cmp_lt_u64_e32 vcc, s[56:57], v[2:3]
	v_cndmask_b32_e32 v4, v8, v4, vcc
	v_cndmask_b32_e64 v8, 0, 1, vcc
	v_lshrrev_b64 v[2:3], v8, v[2:3]
; %bb.208:                              ;   in Loop: Header=BB17_179 Depth=2
	s_andn2_saveexec_b64 s[2:3], s[2:3]
; %bb.209:                              ;   in Loop: Header=BB17_179 Depth=2
	v_bfe_u32 v4, v2, 23, 1
; %bb.210:                              ;   in Loop: Header=BB17_179 Depth=2
	s_or_b64 exec, exec, s[2:3]
	v_lshrrev_b64 v[2:3], 20, v[2:3]
	v_cmp_gt_i32_e32 vcc, 16, v4
	v_cndmask_b32_e32 v3, 0, v3, vcc
	v_cndmask_b32_e32 v2, 7, v2, vcc
	v_cmp_eq_u64_e64 s[2:3], 0, v[2:3]
	v_min_i32_e32 v3, 15, v4
	v_cmp_eq_u32_e32 vcc, 0, v4
	v_lshlrev_b32_e32 v3, 3, v3
	v_and_or_b32 v2, v2, 7, v3
	s_and_b64 s[2:3], vcc, s[2:3]
	v_cndmask_b32_e64 v2, v2, 0, s[2:3]
	v_or_b32_e32 v4, v2, v38
.LBB17_211:                             ;   in Loop: Header=BB17_179 Depth=2
	s_or_b64 exec, exec, s[12:13]
.LBB17_212:                             ;   in Loop: Header=BB17_179 Depth=2
	s_or_b64 exec, exec, s[10:11]
                                        ; implicit-def: $vgpr2
.LBB17_213:                             ;   in Loop: Header=BB17_179 Depth=2
	s_andn2_saveexec_b64 s[2:3], s[8:9]
; %bb.214:                              ;   in Loop: Header=BB17_179 Depth=2
	v_or_b32_sdwa v2, v2, s95 dst_sel:DWORD dst_unused:UNUSED_PAD src0_sel:BYTE_3 src1_sel:DWORD
	v_cmp_eq_u64_e32 vcc, 0, v[8:9]
	v_cndmask_b32_e32 v4, v2, v4, vcc
; %bb.215:                              ;   in Loop: Header=BB17_179 Depth=2
	s_or_b64 exec, exec, s[2:3]
	v_div_scale_f32 v2, s[2:3], s33, s33, v5
	v_rcp_f32_e32 v3, v2
	v_div_scale_f32 v8, vcc, v5, s33, v5
	v_fma_f32 v38, -v2, v3, 1.0
	v_fmac_f32_e32 v3, v38, v3
	v_mul_f32_e32 v38, v8, v3
	v_fma_f32 v39, -v2, v38, v8
	v_fmac_f32_e32 v38, v39, v3
	v_fma_f32 v2, -v2, v38, v8
	v_div_fmas_f32 v2, v2, v3, v38
	v_div_fixup_f32 v3, v2, s33, v5
	v_and_b32_sdwa v5, v3, s93 dst_sel:DWORD dst_unused:UNUSED_PAD src0_sel:BYTE_3 src1_sel:DWORD
	v_and_b32_e32 v38, 0x7f800000, v3
	v_mov_b32_e32 v39, v9
	v_and_b32_e32 v8, 0x7fffff, v3
	v_or_b32_e32 v2, 0x7e, v5
	v_cmp_ne_u64_e32 vcc, s[52:53], v[38:39]
	s_and_saveexec_b64 s[2:3], vcc
	s_xor_b64 s[8:9], exec, s[2:3]
	s_cbranch_execz .LBB17_225
; %bb.216:                              ;   in Loop: Header=BB17_179 Depth=2
	v_and_b32_e32 v38, 0x7fffffff, v3
	v_mov_b32_e32 v39, v9
	v_cmp_gt_u64_e32 vcc, s[54:55], v[38:39]
	s_and_saveexec_b64 s[10:11], vcc
	s_cbranch_execz .LBB17_224
; %bb.217:                              ;   in Loop: Header=BB17_179 Depth=2
	v_cmp_ne_u32_e32 vcc, 0, v3
	v_mov_b32_e32 v2, 0
	s_and_saveexec_b64 s[12:13], vcc
	s_cbranch_execz .LBB17_223
; %bb.218:                              ;   in Loop: Header=BB17_179 Depth=2
	v_bfe_u32 v2, v3, 23, 8
	v_sub_u32_e32 v38, 0x79, v2
	v_cmp_gt_u32_e32 vcc, s94, v2
	v_cndmask_b32_e32 v38, 0, v38, vcc
	v_cmp_eq_u32_e32 vcc, 0, v2
	v_cndmask_b32_e32 v38, v38, v67, vcc
	v_add_u32_e32 v3, 0xffffff81, v2
	v_or_b32_e32 v39, 0x800000, v8
	v_add_u32_e32 v2, 20, v38
	v_cndmask_b32_e32 v44, v3, v66, vcc
	v_cndmask_b32_e32 v8, v39, v8, vcc
	v_lshlrev_b64 v[2:3], v2, -1
	v_not_b32_e32 v2, v2
	v_lshrrev_b64 v[42:43], v38, v[8:9]
	v_not_b32_e32 v3, v3
	v_and_b32_e32 v2, v8, v2
	v_add_u32_e32 v39, 19, v38
	v_lshrrev_b32_e32 v8, 23, v42
	v_and_b32_e32 v3, 0, v3
	v_lshlrev_b64 v[40:41], v39, 1
	v_add3_u32 v39, v38, v44, v8
	v_bfe_u32 v8, v42, 20, 1
	v_add_u32_e32 v8, -1, v8
	v_cmp_eq_u64_e32 vcc, v[2:3], v[40:41]
	v_cndmask_b32_e32 v2, 0, v8, vcc
	v_add_u32_e32 v2, v2, v42
	v_and_b32_e32 v2, 0xfffff, v2
	v_add_co_u32_e32 v2, vcc, v2, v42
	v_add_u32_e32 v38, 6, v39
	v_addc_co_u32_e32 v3, vcc, 0, v43, vcc
	v_cmp_ne_u32_e32 vcc, 0, v38
                                        ; implicit-def: $vgpr8
	s_and_saveexec_b64 s[2:3], vcc
	s_xor_b64 s[2:3], exec, s[2:3]
; %bb.219:                              ;   in Loop: Header=BB17_179 Depth=2
	v_add_u32_e32 v8, 7, v39
	v_cmp_lt_u64_e32 vcc, s[56:57], v[2:3]
	v_cndmask_b32_e32 v8, v38, v8, vcc
	v_cndmask_b32_e64 v38, 0, 1, vcc
	v_lshrrev_b64 v[2:3], v38, v[2:3]
; %bb.220:                              ;   in Loop: Header=BB17_179 Depth=2
	s_andn2_saveexec_b64 s[2:3], s[2:3]
; %bb.221:                              ;   in Loop: Header=BB17_179 Depth=2
	v_bfe_u32 v8, v2, 23, 1
; %bb.222:                              ;   in Loop: Header=BB17_179 Depth=2
	s_or_b64 exec, exec, s[2:3]
	v_lshrrev_b64 v[2:3], 20, v[2:3]
	v_cmp_gt_i32_e32 vcc, 16, v8
	v_cndmask_b32_e32 v3, 0, v3, vcc
	v_cndmask_b32_e32 v2, 7, v2, vcc
	v_cmp_eq_u64_e64 s[2:3], 0, v[2:3]
	v_min_i32_e32 v3, 15, v8
	v_cmp_eq_u32_e32 vcc, 0, v8
	v_lshlrev_b32_e32 v3, 3, v3
	v_and_or_b32 v2, v2, 7, v3
	s_and_b64 s[2:3], vcc, s[2:3]
	v_cndmask_b32_e64 v2, v2, 0, s[2:3]
	v_or_b32_e32 v2, v2, v5
.LBB17_223:                             ;   in Loop: Header=BB17_179 Depth=2
	s_or_b64 exec, exec, s[12:13]
.LBB17_224:                             ;   in Loop: Header=BB17_179 Depth=2
	s_or_b64 exec, exec, s[10:11]
                                        ; implicit-def: $vgpr3
.LBB17_225:                             ;   in Loop: Header=BB17_179 Depth=2
	s_andn2_saveexec_b64 s[2:3], s[8:9]
	s_cbranch_execz .LBB17_178
; %bb.226:                              ;   in Loop: Header=BB17_179 Depth=2
	v_or_b32_sdwa v3, v3, s95 dst_sel:DWORD dst_unused:UNUSED_PAD src0_sel:BYTE_3 src1_sel:DWORD
	v_cmp_eq_u64_e32 vcc, 0, v[8:9]
	v_cndmask_b32_e32 v2, v3, v2, vcc
	s_branch .LBB17_178
.LBB17_227:                             ;   in Loop: Header=BB17_9 Depth=1
	s_or_b64 exec, exec, s[4:5]
	v_lshlrev_b32_e32 v3, 2, v36
	v_add_u32_e32 v2, v3, v6
	v_cmp_lt_i32_e32 vcc, v2, v13
	s_and_saveexec_b64 s[62:63], vcc
	s_cbranch_execz .LBB17_251
; %bb.228:                              ;   in Loop: Header=BB17_9 Depth=1
	v_add_u32_e32 v4, v56, v3
	v_max_i32_e32 v4, v4, v13
	v_add_u32_e32 v4, v4, v19
	v_sub_u32_e32 v3, v4, v3
	v_cmp_lt_u32_e32 vcc, 31, v3
	s_mov_b64 s[2:3], -1
	s_and_saveexec_b64 s[64:65], vcc
	s_cbranch_execz .LBB17_232
; %bb.229:                              ;   in Loop: Header=BB17_9 Depth=1
	v_lshrrev_b32_e32 v3, 5, v3
	v_add_co_u32_e32 v53, vcc, v32, v24
	v_add_u32_e32 v52, 1, v3
	v_addc_co_u32_e32 v55, vcc, v33, v25, vcc
	v_add_co_u32_e32 v68, vcc, v34, v22
	v_and_b32_e32 v54, 0xffffffe, v52
	v_add_u32_e32 v3, 32, v2
	v_addc_co_u32_e32 v69, vcc, v35, v23, vcc
	s_mov_b64 s[66:67], 0
	v_mov_b32_e32 v70, v54
	v_pk_mov_b32 v[4:5], v[2:3], v[2:3] op_sel:[0,1]
.LBB17_230:                             ;   Parent Loop BB17_9 Depth=1
                                        ; =>  This Inner Loop Header: Depth=2
	v_mov_b32_e32 v32, v4
	v_ashrrev_i32_e32 v33, 31, v4
	v_add_co_u32_e32 v48, vcc, v68, v32
	v_mov_b32_e32 v30, v5
	v_addc_co_u32_e32 v49, vcc, v69, v33, vcc
	v_ashrrev_i32_e32 v31, 31, v5
	v_add_co_u32_e32 v50, vcc, v68, v30
	v_addc_co_u32_e32 v51, vcc, v69, v31, vcc
	v_lshlrev_b64 v[32:33], 2, v[32:33]
	v_add_co_u32_e32 v32, vcc, v53, v32
	v_lshlrev_b64 v[30:31], 2, v[30:31]
	v_addc_co_u32_e32 v33, vcc, v55, v33, vcc
	v_add_co_u32_e32 v30, vcc, v53, v30
	v_addc_co_u32_e32 v31, vcc, v55, v31, vcc
	global_load_dword v3, v[30:31], off
	global_load_dword v8, v[32:33], off
	v_mov_b32_e32 v45, v9
	v_mov_b32_e32 v47, v9
	v_mov_b32_e32 v27, v9
	v_mov_b32_e32 v41, v9
	v_mov_b32_e32 v43, v9
	v_mov_b32_e32 v35, v9
	v_mov_b32_e32 v29, v9
	v_mov_b32_e32 v39, v9
	v_mov_b32_e32 v37, v9
	v_add_u32_e32 v70, -2, v70
	v_cmp_eq_u32_e64 s[2:3], 0, v70
	v_add_u32_e32 v5, 64, v5
	v_add_u32_e32 v4, 64, v4
	s_waitcnt vmcnt(1)
	v_div_scale_f32 v26, s[4:5], s85, s85, v3
	s_waitcnt vmcnt(0)
	v_div_scale_f32 v30, s[4:5], s33, s33, v8
	v_rcp_f32_e32 v32, v26
	v_rcp_f32_e32 v33, v30
	v_div_scale_f32 v28, vcc, v3, s85, v3
	v_fma_f32 v34, -v26, v32, 1.0
	v_fma_f32 v36, -v30, v33, 1.0
	v_fmac_f32_e32 v32, v34, v32
	v_div_scale_f32 v31, s[4:5], v8, s33, v8
	v_fmac_f32_e32 v33, v36, v33
	v_mul_f32_e32 v34, v28, v32
	v_mul_f32_e32 v36, v31, v33
	v_fma_f32 v38, -v26, v34, v28
	v_fma_f32 v40, -v30, v36, v31
	v_fmac_f32_e32 v34, v38, v32
	v_fmac_f32_e32 v36, v40, v33
	v_fma_f32 v26, -v26, v34, v28
	v_fma_f32 v28, -v30, v36, v31
	v_div_fmas_f32 v26, v26, v32, v34
	s_mov_b64 vcc, s[4:5]
	v_div_fixup_f32 v3, v26, s85, v3
	v_div_fmas_f32 v26, v28, v33, v36
	v_div_fixup_f32 v28, v26, s33, v8
	v_bfe_u32 v30, v3, 23, 8
	v_and_b32_e32 v44, 0x7f800000, v3
	v_and_b32_e32 v46, 0x7fffffff, v3
	;; [unrolled: 1-line block ×3, first 2 shown]
	v_bfe_u32 v31, v28, 23, 8
	v_and_b32_e32 v40, 0x7f800000, v28
	v_cmp_ne_u64_e64 s[6:7], s[52:53], v[44:45]
	v_and_b32_e32 v42, 0x7fffffff, v28
	v_cmp_lt_u64_e64 s[8:9], s[58:59], v[46:47]
	v_cmp_gt_u64_e64 s[10:11], s[54:55], v[46:47]
	v_sub_u32_e32 v34, 0x79, v30
	v_cmp_gt_u32_e64 s[20:21], s94, v30
	v_and_b32_sdwa v71, v3, s93 dst_sel:DWORD dst_unused:UNUSED_PAD src0_sel:BYTE_3 src1_sel:DWORD
	v_cmp_ne_u32_e64 s[4:5], 0, v3
	v_and_b32_e32 v8, 0x7fffff, v28
	v_and_b32_sdwa v72, v28, s93 dst_sel:DWORD dst_unused:UNUSED_PAD src0_sel:BYTE_3 src1_sel:DWORD
	v_cmp_eq_u32_e64 s[12:13], 0, v28
	v_cmp_ne_u32_e64 s[14:15], 0, v28
	v_cmp_eq_u32_e64 s[16:17], 0, v30
	v_or_b32_e32 v36, 0x800000, v26
	v_or_b32_sdwa v38, v28, s95 dst_sel:DWORD dst_unused:UNUSED_PAD src0_sel:BYTE_3 src1_sel:DWORD
	v_cmp_eq_u64_e64 s[18:19], 0, v[26:27]
	v_cmp_ne_u64_e64 s[22:23], s[52:53], v[40:41]
	v_cmp_lt_u64_e64 s[24:25], s[58:59], v[42:43]
	s_and_b64 s[46:47], s[6:7], s[10:11]
	v_sub_u32_e32 v28, 0x79, v31
	v_cndmask_b32_e64 v40, 0, v34, s[20:21]
	s_and_b64 s[88:89], s[6:7], s[8:9]
	v_cmp_gt_u32_e64 s[8:9], s94, v31
	v_cmp_eq_u32_e32 vcc, 0, v3
	v_or_b32_sdwa v3, v3, s95 dst_sel:DWORD dst_unused:UNUSED_PAD src0_sel:BYTE_3 src1_sel:DWORD
	v_or_b32_e32 v32, 0x7e, v71
	v_cmp_eq_u32_e64 s[10:11], 0, v31
	v_or_b32_e32 v41, 0x800000, v8
	v_cndmask_b32_e64 v34, v36, v26, s[16:17]
	v_cmp_eq_u64_e64 s[6:7], 0, v[8:9]
	s_and_b64 s[20:21], s[46:47], s[4:5]
	v_cndmask_b32_e64 v26, 0, v28, s[8:9]
	v_cndmask_b32_e64 v45, v40, v67, s[16:17]
	s_and_b64 s[8:9], s[22:23], s[24:25]
	s_or_b64 s[4:5], s[88:89], s[18:19]
	v_add_u32_e32 v33, 0xffffff81, v30
	v_or_b32_e32 v30, 0x7e, v72
	v_add_u32_e32 v27, 0xffffff81, v31
	v_cndmask_b32_e64 v28, v41, v8, s[10:11]
	v_cndmask_b32_e64 v3, v3, v32, s[4:5]
	s_and_b64 s[4:5], s[46:47], vcc
	v_cndmask_b32_e64 v8, v26, v67, s[10:11]
	v_add_u32_e32 v31, 20, v45
	s_or_b64 vcc, s[8:9], s[6:7]
	v_cndmask_b32_e64 v36, v27, v66, s[10:11]
	v_lshrrev_b64 v[26:27], v45, v[34:35]
	v_cndmask_b32_e32 v35, v38, v30, vcc
	v_add_u32_e32 v38, 20, v8
	v_lshlrev_b64 v[30:31], v31, -1
	v_cmp_gt_u64_e64 s[26:27], s[54:55], v[42:43]
	v_add_u32_e32 v32, 19, v45
	v_lshlrev_b64 v[42:43], v38, -1
	v_not_b32_e32 v38, v30
	v_cndmask_b32_e64 v44, v33, v66, s[16:17]
	v_lshlrev_b64 v[32:33], v32, 1
	v_lshrrev_b64 v[40:41], v8, v[28:29]
	v_lshrrev_b32_e32 v29, 23, v26
	v_bfe_u32 v46, v26, 20, 1
	v_and_b32_e32 v38, v34, v38
	s_and_b64 s[26:27], s[22:23], s[26:27]
	v_add_u32_e32 v31, 19, v8
	v_lshrrev_b32_e32 v43, 23, v40
	v_add3_u32 v29, v45, v44, v29
	v_add_u32_e32 v45, -1, v46
	v_not_b32_e32 v42, v42
	v_cmp_eq_u64_e32 vcc, v[38:39], v[32:33]
	v_cndmask_b32_e64 v3, v3, 0, s[4:5]
	s_and_b64 s[4:5], s[26:27], s[12:13]
	v_lshlrev_b64 v[30:31], v31, 1
	v_bfe_u32 v44, v40, 20, 1
	v_add3_u32 v8, v8, v36, v43
	v_and_b32_e32 v36, v28, v42
	v_cndmask_b32_e32 v28, 0, v45, vcc
	v_cndmask_b32_e64 v35, v35, 0, s[4:5]
	v_add_u32_e32 v43, -1, v44
	v_cmp_eq_u64_e64 s[4:5], v[36:37], v[30:31]
	v_add_u32_e32 v28, v28, v26
	v_add_u32_e32 v34, 6, v29
	;; [unrolled: 1-line block ×3, first 2 shown]
	v_cndmask_b32_e64 v29, 0, v43, s[4:5]
	v_and_b32_e32 v28, 0xfffff, v28
	v_add_u32_e32 v29, v29, v40
	v_add_co_u32_e64 v26, s[6:7], v28, v26
	v_and_b32_e32 v29, 0xfffff, v29
	v_addc_co_u32_e64 v27, s[6:7], 0, v27, s[6:7]
	v_add_co_u32_e64 v28, s[6:7], v29, v40
	v_addc_co_u32_e64 v29, s[6:7], 0, v41, s[6:7]
	v_add_u32_e32 v42, 6, v8
	v_cmp_ne_u32_e32 vcc, 0, v34
	v_cmp_lt_u64_e64 s[6:7], s[56:57], v[26:27]
	s_and_b64 s[14:15], s[26:27], s[14:15]
	v_cmp_ne_u32_e64 s[4:5], 0, v42
	v_cndmask_b32_e64 v30, v34, v44, s[6:7]
	v_bfe_u32 v31, v26, 23, 1
	s_and_b64 vcc, s[20:21], vcc
	v_add_u32_e32 v8, 7, v8
	v_cmp_lt_u64_e64 s[8:9], s[56:57], v[28:29]
	v_cndmask_b32_e32 v30, v31, v30, vcc
	s_and_b64 s[6:7], vcc, s[6:7]
	s_and_b64 vcc, s[14:15], s[4:5]
	v_cndmask_b32_e64 v8, v42, v8, s[8:9]
	v_bfe_u32 v32, v28, 23, 1
	v_cndmask_b32_e64 v31, 0, 1, s[6:7]
	s_and_b64 s[4:5], vcc, s[8:9]
	v_cndmask_b32_e32 v8, v32, v8, vcc
	v_cndmask_b32_e64 v32, 0, 1, s[4:5]
	v_lshrrev_b64 v[26:27], v31, v[26:27]
	v_lshrrev_b64 v[28:29], v32, v[28:29]
	;; [unrolled: 1-line block ×3, first 2 shown]
	v_cmp_gt_i32_e64 s[6:7], 16, v30
	v_lshrrev_b64 v[28:29], 20, v[28:29]
	v_cndmask_b32_e64 v27, 0, v27, s[6:7]
	v_cndmask_b32_e64 v26, 7, v26, s[6:7]
	v_cmp_gt_i32_e64 s[6:7], 16, v8
	v_cmp_eq_u32_e32 vcc, 0, v30
	v_cndmask_b32_e64 v29, 0, v29, s[6:7]
	v_cndmask_b32_e64 v28, 7, v28, s[6:7]
	v_cmp_eq_u64_e64 s[6:7], 0, v[26:27]
	v_cmp_eq_u32_e64 s[4:5], 0, v8
	v_cmp_eq_u64_e64 s[8:9], 0, v[28:29]
	s_and_b64 s[6:7], vcc, s[6:7]
	v_min_i32_e32 v31, 15, v30
	s_and_b64 s[4:5], s[4:5], s[8:9]
	s_and_b64 vcc, s[20:21], s[6:7]
	v_min_i32_e32 v32, 15, v8
	v_lshl_or_b32 v31, v31, 3, v71
	s_xor_b64 s[8:9], s[6:7], -1
	v_cndmask_b32_e32 v3, v3, v71, vcc
	s_and_b64 vcc, s[14:15], s[4:5]
	v_lshl_or_b32 v30, v32, 3, v72
	v_and_or_b32 v8, v26, 7, v31
	s_xor_b64 s[6:7], s[4:5], -1
	v_cndmask_b32_e32 v27, v35, v72, vcc
	s_and_b64 vcc, s[20:21], s[8:9]
	v_and_or_b32 v26, v28, 7, v30
	v_cndmask_b32_e32 v3, v3, v8, vcc
	s_and_b64 vcc, s[14:15], s[6:7]
	v_cndmask_b32_e32 v8, v27, v26, vcc
	s_or_b64 s[66:67], s[2:3], s[66:67]
	global_store_byte v[48:49], v8, off
	global_store_byte v[50:51], v3, off
	s_andn2_b64 exec, exec, s[66:67]
	s_cbranch_execnz .LBB17_230
; %bb.231:                              ;   in Loop: Header=BB17_9 Depth=1
	s_or_b64 exec, exec, s[66:67]
	v_cmp_ne_u32_e32 vcc, v52, v54
	v_lshl_add_u32 v2, v54, 5, v2
	s_orn2_b64 s[2:3], vcc, exec
.LBB17_232:                             ;   in Loop: Header=BB17_9 Depth=1
	s_or_b64 exec, exec, s[64:65]
	s_and_b64 exec, exec, s[2:3]
	s_cbranch_execz .LBB17_251
; %bb.233:                              ;   in Loop: Header=BB17_9 Depth=1
	v_ashrrev_i32_e32 v3, 31, v2
	v_lshlrev_b64 v[4:5], 2, v[2:3]
	v_add_co_u32_e32 v4, vcc, v24, v4
	v_addc_co_u32_e32 v5, vcc, v25, v5, vcc
	v_add_co_u32_e32 v4, vcc, v4, v20
	v_addc_co_u32_e32 v5, vcc, v5, v21, vcc
	v_mov_b32_e32 v8, s92
	v_add_co_u32_e32 v4, vcc, s91, v4
	v_addc_co_u32_e32 v5, vcc, v8, v5, vcc
	v_add_co_u32_e32 v8, vcc, v22, v2
	v_addc_co_u32_e32 v3, vcc, v23, v3, vcc
	;; [unrolled: 2-line block ×3, first 2 shown]
	s_mov_b64 s[4:5], 0
	s_branch .LBB17_235
.LBB17_234:                             ;   in Loop: Header=BB17_235 Depth=2
	s_or_b64 exec, exec, s[2:3]
	v_add_co_u32_e32 v4, vcc, 0x80, v4
	v_add_u32_e32 v2, 32, v2
	v_addc_co_u32_e32 v5, vcc, 0, v5, vcc
	v_cmp_ge_i32_e32 vcc, v2, v13
	global_store_byte v[20:21], v23, off
	s_or_b64 s[4:5], vcc, s[4:5]
	v_add_co_u32_e32 v20, vcc, 32, v20
	v_addc_co_u32_e32 v21, vcc, 0, v21, vcc
	s_andn2_b64 exec, exec, s[4:5]
	s_cbranch_execz .LBB17_251
.LBB17_235:                             ;   Parent Loop BB17_9 Depth=1
                                        ; =>  This Inner Loop Header: Depth=2
	global_load_dword v3, v[4:5], off
	v_mov_b32_e32 v25, v9
	s_waitcnt vmcnt(0)
	v_div_scale_f32 v8, s[2:3], s33, s33, v3
	v_rcp_f32_e32 v22, v8
	v_div_scale_f32 v23, vcc, v3, s33, v3
	v_fma_f32 v24, -v8, v22, 1.0
	v_fmac_f32_e32 v22, v24, v22
	v_mul_f32_e32 v24, v23, v22
	v_fma_f32 v26, -v8, v24, v23
	v_fmac_f32_e32 v24, v26, v22
	v_fma_f32 v8, -v8, v24, v23
	v_div_fmas_f32 v8, v8, v22, v24
	v_div_fixup_f32 v22, v8, s33, v3
	v_and_b32_sdwa v3, v22, s93 dst_sel:DWORD dst_unused:UNUSED_PAD src0_sel:BYTE_3 src1_sel:DWORD
	v_and_b32_e32 v24, 0x7f800000, v22
	v_and_b32_e32 v8, 0x7fffff, v22
	v_or_b32_e32 v23, 0x7e, v3
	v_cmp_ne_u64_e32 vcc, s[52:53], v[24:25]
	s_and_saveexec_b64 s[2:3], vcc
	s_xor_b64 s[6:7], exec, s[2:3]
	s_cbranch_execz .LBB17_249
; %bb.236:                              ;   in Loop: Header=BB17_235 Depth=2
	v_and_b32_e32 v24, 0x7fffffff, v22
	v_mov_b32_e32 v25, v9
	v_cmp_gt_u64_e32 vcc, s[54:55], v[24:25]
	s_and_saveexec_b64 s[2:3], vcc
	s_xor_b64 s[8:9], exec, s[2:3]
	s_cbranch_execz .LBB17_248
; %bb.237:                              ;   in Loop: Header=BB17_235 Depth=2
	v_cmp_ne_u32_e32 vcc, 0, v22
	v_mov_b32_e32 v23, 0
	s_and_saveexec_b64 s[10:11], vcc
	s_cbranch_execz .LBB17_247
; %bb.238:                              ;   in Loop: Header=BB17_235 Depth=2
	v_bfe_u32 v22, v22, 23, 8
	v_sub_u32_e32 v24, 0x79, v22
	v_cmp_gt_u32_e32 vcc, s94, v22
	v_cndmask_b32_e32 v24, 0, v24, vcc
	v_cmp_eq_u32_e32 vcc, 0, v22
	v_cndmask_b32_e32 v24, v24, v67, vcc
	v_add_u32_e32 v23, 0xffffff81, v22
	v_or_b32_e32 v25, 0x800000, v8
	v_add_u32_e32 v22, 20, v24
	v_cndmask_b32_e32 v30, v23, v66, vcc
	v_cndmask_b32_e32 v8, v25, v8, vcc
	v_lshlrev_b64 v[22:23], v22, -1
	v_not_b32_e32 v22, v22
	v_lshrrev_b64 v[28:29], v24, v[8:9]
	v_not_b32_e32 v23, v23
	v_and_b32_e32 v22, v8, v22
	v_add_u32_e32 v25, 19, v24
	v_lshrrev_b32_e32 v8, 23, v28
	v_and_b32_e32 v23, 0, v23
	v_lshlrev_b64 v[26:27], v25, 1
	v_add3_u32 v25, v24, v30, v8
	v_bfe_u32 v8, v28, 20, 1
	v_add_u32_e32 v8, -1, v8
	v_cmp_eq_u64_e32 vcc, v[22:23], v[26:27]
	v_cndmask_b32_e32 v8, 0, v8, vcc
	v_add_u32_e32 v8, v8, v28
	v_and_b32_e32 v8, 0xfffff, v8
	v_add_co_u32_e32 v22, vcc, v8, v28
	v_add_u32_e32 v24, 6, v25
	v_addc_co_u32_e32 v23, vcc, 0, v29, vcc
	v_cmp_ne_u32_e32 vcc, 0, v24
                                        ; implicit-def: $vgpr8
	s_and_saveexec_b64 s[2:3], vcc
	s_xor_b64 s[2:3], exec, s[2:3]
; %bb.239:                              ;   in Loop: Header=BB17_235 Depth=2
	v_add_u32_e32 v8, 7, v25
	v_cmp_lt_u64_e32 vcc, s[56:57], v[22:23]
	v_cndmask_b32_e32 v8, v24, v8, vcc
	v_cndmask_b32_e64 v24, 0, 1, vcc
	v_lshrrev_b64 v[22:23], v24, v[22:23]
; %bb.240:                              ;   in Loop: Header=BB17_235 Depth=2
	s_andn2_saveexec_b64 s[2:3], s[2:3]
; %bb.241:                              ;   in Loop: Header=BB17_235 Depth=2
	v_bfe_u32 v8, v22, 23, 1
; %bb.242:                              ;   in Loop: Header=BB17_235 Depth=2
	s_or_b64 exec, exec, s[2:3]
	v_lshrrev_b64 v[22:23], 20, v[22:23]
	v_cmp_gt_i32_e32 vcc, 16, v8
	v_cndmask_b32_e32 v23, 0, v23, vcc
	v_cndmask_b32_e32 v22, 7, v22, vcc
	v_cmp_ne_u32_e32 vcc, 0, v8
	v_cmp_ne_u64_e64 s[2:3], 0, v[22:23]
	s_or_b64 s[2:3], vcc, s[2:3]
                                        ; implicit-def: $vgpr23
	s_and_saveexec_b64 s[12:13], s[2:3]
	s_xor_b64 s[2:3], exec, s[12:13]
; %bb.243:                              ;   in Loop: Header=BB17_235 Depth=2
	v_min_i32_e32 v8, 15, v8
	v_lshl_or_b32 v3, v8, 3, v3
	v_and_or_b32 v23, v22, 7, v3
                                        ; implicit-def: $vgpr3
; %bb.244:                              ;   in Loop: Header=BB17_235 Depth=2
	s_andn2_saveexec_b64 s[2:3], s[2:3]
; %bb.245:                              ;   in Loop: Header=BB17_235 Depth=2
	v_mov_b32_e32 v23, v3
; %bb.246:                              ;   in Loop: Header=BB17_235 Depth=2
	s_or_b64 exec, exec, s[2:3]
.LBB17_247:                             ;   in Loop: Header=BB17_235 Depth=2
	s_or_b64 exec, exec, s[10:11]
.LBB17_248:                             ;   in Loop: Header=BB17_235 Depth=2
	s_andn2_saveexec_b64 s[2:3], s[8:9]
	s_or_b64 exec, exec, s[2:3]
                                        ; implicit-def: $vgpr22
.LBB17_249:                             ;   in Loop: Header=BB17_235 Depth=2
	s_andn2_saveexec_b64 s[2:3], s[6:7]
	s_cbranch_execz .LBB17_234
; %bb.250:                              ;   in Loop: Header=BB17_235 Depth=2
	v_or_b32_sdwa v3, v22, s95 dst_sel:DWORD dst_unused:UNUSED_PAD src0_sel:BYTE_3 src1_sel:DWORD
	v_cmp_eq_u64_e32 vcc, 0, v[8:9]
	v_cndmask_b32_e32 v23, v3, v23, vcc
	s_branch .LBB17_234
.LBB17_251:                             ;   in Loop: Header=BB17_9 Depth=1
	s_or_b64 exec, exec, s[62:63]
                                        ; implicit-def: $vgpr20_vgpr21
.LBB17_252:                             ;   in Loop: Header=BB17_9 Depth=1
	s_andn2_saveexec_b64 s[4:5], s[60:61]
	s_cbranch_execz .LBB17_8
; %bb.253:                              ;   in Loop: Header=BB17_9 Depth=1
	s_and_saveexec_b64 s[6:7], s[0:1]
	s_cbranch_execz .LBB17_7
; %bb.254:                              ;   in Loop: Header=BB17_9 Depth=1
	v_add_co_u32_e32 v20, vcc, v63, v20
	v_addc_co_u32_e32 v21, vcc, v64, v21, vcc
	s_mov_b64 s[8:9], 0
	v_pk_mov_b32 v[22:23], v[16:17], v[16:17] op_sel:[0,1]
	v_mov_b32_e32 v13, v6
	s_branch .LBB17_256
.LBB17_255:                             ;   in Loop: Header=BB17_256 Depth=2
	s_or_b64 exec, exec, s[2:3]
	v_lshlrev_b32_e32 v3, 16, v4
	v_perm_b32 v2, v2, v3, s70
	v_lshlrev_b32_e32 v3, 8, v25
	v_and_b32_e32 v3, 0xff00, v3
	v_and_b32_e32 v4, 0xff, v24
	v_or3_b32 v2, v2, v3, v4
	global_store_dword v[22:23], v2, off
	v_add_co_u32_e32 v22, vcc, 0x80, v22
	v_add_u32_e32 v13, 32, v13
	v_addc_co_u32_e32 v23, vcc, 0, v23, vcc
	v_add_co_u32_e32 v20, vcc, 0x200, v20
	v_cmp_le_i32_e64 s[2:3], s83, v13
	s_or_b64 s[8:9], s[2:3], s[8:9]
	v_addc_co_u32_e32 v21, vcc, 0, v21, vcc
	s_andn2_b64 exec, exec, s[8:9]
	s_cbranch_execz .LBB17_7
.LBB17_256:                             ;   Parent Loop BB17_9 Depth=1
                                        ; =>  This Inner Loop Header: Depth=2
	global_load_dwordx4 v[2:5], v[20:21], off offset:-8
	v_mov_b32_e32 v27, v9
	s_waitcnt vmcnt(0)
	v_div_scale_f32 v8, s[2:3], s33, s33, v2
	v_rcp_f32_e32 v24, v8
	v_div_scale_f32 v25, vcc, v2, s33, v2
	v_fma_f32 v26, -v8, v24, 1.0
	v_fmac_f32_e32 v24, v26, v24
	v_mul_f32_e32 v26, v25, v24
	v_fma_f32 v28, -v8, v26, v25
	v_fmac_f32_e32 v26, v28, v24
	v_fma_f32 v8, -v8, v26, v25
	v_div_fmas_f32 v8, v8, v24, v26
	v_div_fixup_f32 v25, v8, s33, v2
	v_and_b32_sdwa v2, v25, s93 dst_sel:DWORD dst_unused:UNUSED_PAD src0_sel:BYTE_3 src1_sel:DWORD
	v_and_b32_e32 v26, 0x7f800000, v25
	v_and_b32_e32 v8, 0x7fffff, v25
	v_or_b32_e32 v24, 0x7e, v2
	v_cmp_ne_u64_e32 vcc, s[52:53], v[26:27]
	s_and_saveexec_b64 s[2:3], vcc
	s_xor_b64 s[10:11], exec, s[2:3]
	s_cbranch_execz .LBB17_266
; %bb.257:                              ;   in Loop: Header=BB17_256 Depth=2
	v_and_b32_e32 v26, 0x7fffffff, v25
	v_mov_b32_e32 v27, v9
	v_cmp_gt_u64_e32 vcc, s[54:55], v[26:27]
	s_and_saveexec_b64 s[12:13], vcc
	s_cbranch_execz .LBB17_265
; %bb.258:                              ;   in Loop: Header=BB17_256 Depth=2
	v_cmp_ne_u32_e32 vcc, 0, v25
	v_mov_b32_e32 v24, 0
	s_and_saveexec_b64 s[14:15], vcc
	s_cbranch_execz .LBB17_264
; %bb.259:                              ;   in Loop: Header=BB17_256 Depth=2
	v_bfe_u32 v24, v25, 23, 8
	v_sub_u32_e32 v26, 0x79, v24
	v_cmp_gt_u32_e32 vcc, s94, v24
	v_cndmask_b32_e32 v26, 0, v26, vcc
	v_cmp_eq_u32_e32 vcc, 0, v24
	v_cndmask_b32_e32 v26, v26, v67, vcc
	v_add_u32_e32 v25, 0xffffff81, v24
	v_or_b32_e32 v27, 0x800000, v8
	v_add_u32_e32 v24, 20, v26
	v_cndmask_b32_e32 v32, v25, v66, vcc
	v_cndmask_b32_e32 v8, v27, v8, vcc
	v_lshlrev_b64 v[24:25], v24, -1
	v_not_b32_e32 v24, v24
	v_lshrrev_b64 v[30:31], v26, v[8:9]
	v_not_b32_e32 v25, v25
	v_and_b32_e32 v24, v8, v24
	v_add_u32_e32 v27, 19, v26
	v_lshrrev_b32_e32 v8, 23, v30
	v_and_b32_e32 v25, 0, v25
	v_lshlrev_b64 v[28:29], v27, 1
	v_add3_u32 v27, v26, v32, v8
	v_bfe_u32 v8, v30, 20, 1
	v_add_u32_e32 v8, -1, v8
	v_cmp_eq_u64_e32 vcc, v[24:25], v[28:29]
	v_cndmask_b32_e32 v8, 0, v8, vcc
	v_add_u32_e32 v8, v8, v30
	v_and_b32_e32 v8, 0xfffff, v8
	v_add_co_u32_e32 v24, vcc, v8, v30
	v_add_u32_e32 v26, 6, v27
	v_addc_co_u32_e32 v25, vcc, 0, v31, vcc
	v_cmp_ne_u32_e32 vcc, 0, v26
                                        ; implicit-def: $vgpr8
	s_and_saveexec_b64 s[2:3], vcc
	s_xor_b64 s[2:3], exec, s[2:3]
; %bb.260:                              ;   in Loop: Header=BB17_256 Depth=2
	v_add_u32_e32 v8, 7, v27
	v_cmp_lt_u64_e32 vcc, s[56:57], v[24:25]
	v_cndmask_b32_e32 v8, v26, v8, vcc
	v_cndmask_b32_e64 v26, 0, 1, vcc
	v_lshrrev_b64 v[24:25], v26, v[24:25]
; %bb.261:                              ;   in Loop: Header=BB17_256 Depth=2
	s_andn2_saveexec_b64 s[2:3], s[2:3]
; %bb.262:                              ;   in Loop: Header=BB17_256 Depth=2
	v_bfe_u32 v8, v24, 23, 1
; %bb.263:                              ;   in Loop: Header=BB17_256 Depth=2
	s_or_b64 exec, exec, s[2:3]
	v_lshrrev_b64 v[24:25], 20, v[24:25]
	v_cmp_gt_i32_e32 vcc, 16, v8
	v_cndmask_b32_e32 v25, 0, v25, vcc
	v_cndmask_b32_e32 v24, 7, v24, vcc
	v_cmp_eq_u32_e32 vcc, 0, v8
	v_min_i32_e32 v8, 15, v8
	v_cmp_eq_u64_e64 s[2:3], 0, v[24:25]
	v_lshlrev_b32_e32 v8, 3, v8
	v_and_or_b32 v8, v24, 7, v8
	s_and_b64 s[2:3], vcc, s[2:3]
	v_cndmask_b32_e64 v8, v8, 0, s[2:3]
	v_or_b32_e32 v24, v8, v2
.LBB17_264:                             ;   in Loop: Header=BB17_256 Depth=2
	s_or_b64 exec, exec, s[14:15]
.LBB17_265:                             ;   in Loop: Header=BB17_256 Depth=2
	s_or_b64 exec, exec, s[12:13]
                                        ; implicit-def: $vgpr25
.LBB17_266:                             ;   in Loop: Header=BB17_256 Depth=2
	s_andn2_saveexec_b64 s[2:3], s[10:11]
; %bb.267:                              ;   in Loop: Header=BB17_256 Depth=2
	v_or_b32_sdwa v2, v25, s95 dst_sel:DWORD dst_unused:UNUSED_PAD src0_sel:BYTE_3 src1_sel:DWORD
	v_cmp_eq_u64_e32 vcc, 0, v[8:9]
	v_cndmask_b32_e32 v24, v2, v24, vcc
; %bb.268:                              ;   in Loop: Header=BB17_256 Depth=2
	s_or_b64 exec, exec, s[2:3]
	v_div_scale_f32 v2, s[2:3], s33, s33, v3
	v_rcp_f32_e32 v8, v2
	v_div_scale_f32 v25, vcc, v3, s33, v3
	v_mov_b32_e32 v29, v9
	v_fma_f32 v26, -v2, v8, 1.0
	v_fmac_f32_e32 v8, v26, v8
	v_mul_f32_e32 v26, v25, v8
	v_fma_f32 v27, -v2, v26, v25
	v_fmac_f32_e32 v26, v27, v8
	v_fma_f32 v2, -v2, v26, v25
	v_div_fmas_f32 v2, v2, v8, v26
	v_div_fixup_f32 v2, v2, s33, v3
	v_and_b32_sdwa v26, v2, s93 dst_sel:DWORD dst_unused:UNUSED_PAD src0_sel:BYTE_3 src1_sel:DWORD
	v_and_b32_e32 v28, 0x7f800000, v2
	v_and_b32_e32 v8, 0x7fffff, v2
	v_or_b32_e32 v25, 0x7e, v26
	v_cmp_ne_u64_e32 vcc, s[52:53], v[28:29]
	s_and_saveexec_b64 s[2:3], vcc
	s_xor_b64 s[10:11], exec, s[2:3]
	s_cbranch_execz .LBB17_278
; %bb.269:                              ;   in Loop: Header=BB17_256 Depth=2
	v_and_b32_e32 v28, 0x7fffffff, v2
	v_mov_b32_e32 v29, v9
	v_cmp_gt_u64_e32 vcc, s[54:55], v[28:29]
	s_and_saveexec_b64 s[12:13], vcc
	s_cbranch_execz .LBB17_277
; %bb.270:                              ;   in Loop: Header=BB17_256 Depth=2
	v_cmp_ne_u32_e32 vcc, 0, v2
	v_mov_b32_e32 v25, 0
	s_and_saveexec_b64 s[14:15], vcc
	s_cbranch_execz .LBB17_276
; %bb.271:                              ;   in Loop: Header=BB17_256 Depth=2
	v_bfe_u32 v2, v2, 23, 8
	v_sub_u32_e32 v25, 0x79, v2
	v_cmp_gt_u32_e32 vcc, s94, v2
	v_cndmask_b32_e32 v25, 0, v25, vcc
	v_cmp_eq_u32_e32 vcc, 0, v2
	v_cndmask_b32_e32 v25, v25, v67, vcc
	v_add_u32_e32 v3, 0xffffff81, v2
	v_or_b32_e32 v27, 0x800000, v8
	v_add_u32_e32 v2, 20, v25
	v_cndmask_b32_e32 v32, v3, v66, vcc
	v_cndmask_b32_e32 v8, v27, v8, vcc
	v_lshlrev_b64 v[2:3], v2, -1
	v_not_b32_e32 v2, v2
	v_lshrrev_b64 v[30:31], v25, v[8:9]
	v_not_b32_e32 v3, v3
	v_and_b32_e32 v2, v8, v2
	v_add_u32_e32 v27, 19, v25
	v_lshrrev_b32_e32 v8, 23, v30
	v_and_b32_e32 v3, 0, v3
	v_lshlrev_b64 v[28:29], v27, 1
	v_add3_u32 v27, v25, v32, v8
	v_bfe_u32 v8, v30, 20, 1
	v_add_u32_e32 v8, -1, v8
	v_cmp_eq_u64_e32 vcc, v[2:3], v[28:29]
	v_cndmask_b32_e32 v2, 0, v8, vcc
	v_add_u32_e32 v2, v2, v30
	v_and_b32_e32 v2, 0xfffff, v2
	v_add_co_u32_e32 v2, vcc, v2, v30
	v_add_u32_e32 v25, 6, v27
	v_addc_co_u32_e32 v3, vcc, 0, v31, vcc
	v_cmp_ne_u32_e32 vcc, 0, v25
                                        ; implicit-def: $vgpr8
	s_and_saveexec_b64 s[2:3], vcc
	s_xor_b64 s[2:3], exec, s[2:3]
; %bb.272:                              ;   in Loop: Header=BB17_256 Depth=2
	v_add_u32_e32 v8, 7, v27
	v_cmp_lt_u64_e32 vcc, s[56:57], v[2:3]
	v_cndmask_b32_e32 v8, v25, v8, vcc
	v_cndmask_b32_e64 v25, 0, 1, vcc
	v_lshrrev_b64 v[2:3], v25, v[2:3]
; %bb.273:                              ;   in Loop: Header=BB17_256 Depth=2
	s_andn2_saveexec_b64 s[2:3], s[2:3]
; %bb.274:                              ;   in Loop: Header=BB17_256 Depth=2
	v_bfe_u32 v8, v2, 23, 1
; %bb.275:                              ;   in Loop: Header=BB17_256 Depth=2
	s_or_b64 exec, exec, s[2:3]
	v_lshrrev_b64 v[2:3], 20, v[2:3]
	v_cmp_gt_i32_e32 vcc, 16, v8
	v_cndmask_b32_e32 v3, 0, v3, vcc
	v_cndmask_b32_e32 v2, 7, v2, vcc
	v_cmp_eq_u64_e64 s[2:3], 0, v[2:3]
	v_min_i32_e32 v3, 15, v8
	v_cmp_eq_u32_e32 vcc, 0, v8
	v_lshlrev_b32_e32 v3, 3, v3
	v_and_or_b32 v2, v2, 7, v3
	s_and_b64 s[2:3], vcc, s[2:3]
	v_cndmask_b32_e64 v2, v2, 0, s[2:3]
	v_or_b32_e32 v25, v2, v26
.LBB17_276:                             ;   in Loop: Header=BB17_256 Depth=2
	s_or_b64 exec, exec, s[14:15]
.LBB17_277:                             ;   in Loop: Header=BB17_256 Depth=2
	s_or_b64 exec, exec, s[12:13]
                                        ; implicit-def: $vgpr2
.LBB17_278:                             ;   in Loop: Header=BB17_256 Depth=2
	s_andn2_saveexec_b64 s[2:3], s[10:11]
; %bb.279:                              ;   in Loop: Header=BB17_256 Depth=2
	v_or_b32_sdwa v2, v2, s95 dst_sel:DWORD dst_unused:UNUSED_PAD src0_sel:BYTE_3 src1_sel:DWORD
	v_cmp_eq_u64_e32 vcc, 0, v[8:9]
	v_cndmask_b32_e32 v25, v2, v25, vcc
; %bb.280:                              ;   in Loop: Header=BB17_256 Depth=2
	s_or_b64 exec, exec, s[2:3]
	v_div_scale_f32 v2, s[2:3], s33, s33, v4
	v_rcp_f32_e32 v3, v2
	v_div_scale_f32 v8, vcc, v4, s33, v4
	v_mov_b32_e32 v29, v9
	v_fma_f32 v26, -v2, v3, 1.0
	v_fmac_f32_e32 v3, v26, v3
	v_mul_f32_e32 v26, v8, v3
	v_fma_f32 v27, -v2, v26, v8
	v_fmac_f32_e32 v26, v27, v3
	v_fma_f32 v2, -v2, v26, v8
	v_div_fmas_f32 v2, v2, v3, v26
	v_div_fixup_f32 v2, v2, s33, v4
	v_and_b32_sdwa v26, v2, s93 dst_sel:DWORD dst_unused:UNUSED_PAD src0_sel:BYTE_3 src1_sel:DWORD
	v_and_b32_e32 v28, 0x7f800000, v2
	v_and_b32_e32 v8, 0x7fffff, v2
	v_or_b32_e32 v4, 0x7e, v26
	v_cmp_ne_u64_e32 vcc, s[52:53], v[28:29]
	s_and_saveexec_b64 s[2:3], vcc
	s_xor_b64 s[10:11], exec, s[2:3]
	s_cbranch_execz .LBB17_290
; %bb.281:                              ;   in Loop: Header=BB17_256 Depth=2
	v_and_b32_e32 v28, 0x7fffffff, v2
	v_mov_b32_e32 v29, v9
	v_cmp_gt_u64_e32 vcc, s[54:55], v[28:29]
	s_and_saveexec_b64 s[12:13], vcc
	s_cbranch_execz .LBB17_289
; %bb.282:                              ;   in Loop: Header=BB17_256 Depth=2
	v_cmp_ne_u32_e32 vcc, 0, v2
	v_mov_b32_e32 v4, 0
	s_and_saveexec_b64 s[14:15], vcc
	s_cbranch_execz .LBB17_288
; %bb.283:                              ;   in Loop: Header=BB17_256 Depth=2
	v_bfe_u32 v2, v2, 23, 8
	v_sub_u32_e32 v4, 0x79, v2
	v_cmp_gt_u32_e32 vcc, s94, v2
	v_cndmask_b32_e32 v4, 0, v4, vcc
	v_cmp_eq_u32_e32 vcc, 0, v2
	v_cndmask_b32_e32 v4, v4, v67, vcc
	v_add_u32_e32 v3, 0xffffff81, v2
	v_or_b32_e32 v27, 0x800000, v8
	v_add_u32_e32 v2, 20, v4
	v_cndmask_b32_e32 v32, v3, v66, vcc
	v_cndmask_b32_e32 v8, v27, v8, vcc
	v_lshlrev_b64 v[2:3], v2, -1
	v_not_b32_e32 v2, v2
	v_lshrrev_b64 v[30:31], v4, v[8:9]
	v_not_b32_e32 v3, v3
	v_and_b32_e32 v2, v8, v2
	v_add_u32_e32 v27, 19, v4
	v_lshrrev_b32_e32 v8, 23, v30
	v_and_b32_e32 v3, 0, v3
	v_lshlrev_b64 v[28:29], v27, 1
	v_add3_u32 v27, v4, v32, v8
	v_bfe_u32 v4, v30, 20, 1
	v_add_u32_e32 v4, -1, v4
	v_cmp_eq_u64_e32 vcc, v[2:3], v[28:29]
	v_cndmask_b32_e32 v2, 0, v4, vcc
	v_add_u32_e32 v2, v2, v30
	v_and_b32_e32 v2, 0xfffff, v2
	v_add_co_u32_e32 v2, vcc, v2, v30
	v_add_u32_e32 v8, 6, v27
	v_addc_co_u32_e32 v3, vcc, 0, v31, vcc
	v_cmp_ne_u32_e32 vcc, 0, v8
                                        ; implicit-def: $vgpr4
	s_and_saveexec_b64 s[2:3], vcc
	s_xor_b64 s[2:3], exec, s[2:3]
; %bb.284:                              ;   in Loop: Header=BB17_256 Depth=2
	v_add_u32_e32 v4, 7, v27
	v_cmp_lt_u64_e32 vcc, s[56:57], v[2:3]
	v_cndmask_b32_e32 v4, v8, v4, vcc
	v_cndmask_b32_e64 v8, 0, 1, vcc
	v_lshrrev_b64 v[2:3], v8, v[2:3]
; %bb.285:                              ;   in Loop: Header=BB17_256 Depth=2
	s_andn2_saveexec_b64 s[2:3], s[2:3]
; %bb.286:                              ;   in Loop: Header=BB17_256 Depth=2
	v_bfe_u32 v4, v2, 23, 1
; %bb.287:                              ;   in Loop: Header=BB17_256 Depth=2
	s_or_b64 exec, exec, s[2:3]
	v_lshrrev_b64 v[2:3], 20, v[2:3]
	v_cmp_gt_i32_e32 vcc, 16, v4
	v_cndmask_b32_e32 v3, 0, v3, vcc
	v_cndmask_b32_e32 v2, 7, v2, vcc
	v_cmp_eq_u64_e64 s[2:3], 0, v[2:3]
	v_min_i32_e32 v3, 15, v4
	v_cmp_eq_u32_e32 vcc, 0, v4
	v_lshlrev_b32_e32 v3, 3, v3
	v_and_or_b32 v2, v2, 7, v3
	s_and_b64 s[2:3], vcc, s[2:3]
	v_cndmask_b32_e64 v2, v2, 0, s[2:3]
	v_or_b32_e32 v4, v2, v26
.LBB17_288:                             ;   in Loop: Header=BB17_256 Depth=2
	s_or_b64 exec, exec, s[14:15]
.LBB17_289:                             ;   in Loop: Header=BB17_256 Depth=2
	s_or_b64 exec, exec, s[12:13]
                                        ; implicit-def: $vgpr2
.LBB17_290:                             ;   in Loop: Header=BB17_256 Depth=2
	s_andn2_saveexec_b64 s[2:3], s[10:11]
; %bb.291:                              ;   in Loop: Header=BB17_256 Depth=2
	v_or_b32_sdwa v2, v2, s95 dst_sel:DWORD dst_unused:UNUSED_PAD src0_sel:BYTE_3 src1_sel:DWORD
	v_cmp_eq_u64_e32 vcc, 0, v[8:9]
	v_cndmask_b32_e32 v4, v2, v4, vcc
; %bb.292:                              ;   in Loop: Header=BB17_256 Depth=2
	s_or_b64 exec, exec, s[2:3]
	v_div_scale_f32 v2, s[2:3], s33, s33, v5
	v_rcp_f32_e32 v3, v2
	v_div_scale_f32 v8, vcc, v5, s33, v5
	v_fma_f32 v26, -v2, v3, 1.0
	v_fmac_f32_e32 v3, v26, v3
	v_mul_f32_e32 v26, v8, v3
	v_fma_f32 v27, -v2, v26, v8
	v_fmac_f32_e32 v26, v27, v3
	v_fma_f32 v2, -v2, v26, v8
	v_div_fmas_f32 v2, v2, v3, v26
	v_div_fixup_f32 v3, v2, s33, v5
	v_and_b32_sdwa v5, v3, s93 dst_sel:DWORD dst_unused:UNUSED_PAD src0_sel:BYTE_3 src1_sel:DWORD
	v_and_b32_e32 v26, 0x7f800000, v3
	v_mov_b32_e32 v27, v9
	v_and_b32_e32 v8, 0x7fffff, v3
	v_or_b32_e32 v2, 0x7e, v5
	v_cmp_ne_u64_e32 vcc, s[52:53], v[26:27]
	s_and_saveexec_b64 s[2:3], vcc
	s_xor_b64 s[10:11], exec, s[2:3]
	s_cbranch_execz .LBB17_302
; %bb.293:                              ;   in Loop: Header=BB17_256 Depth=2
	v_and_b32_e32 v26, 0x7fffffff, v3
	v_mov_b32_e32 v27, v9
	v_cmp_gt_u64_e32 vcc, s[54:55], v[26:27]
	s_and_saveexec_b64 s[12:13], vcc
	s_cbranch_execz .LBB17_301
; %bb.294:                              ;   in Loop: Header=BB17_256 Depth=2
	v_cmp_ne_u32_e32 vcc, 0, v3
	v_mov_b32_e32 v2, 0
	s_and_saveexec_b64 s[14:15], vcc
	s_cbranch_execz .LBB17_300
; %bb.295:                              ;   in Loop: Header=BB17_256 Depth=2
	v_bfe_u32 v2, v3, 23, 8
	v_sub_u32_e32 v26, 0x79, v2
	v_cmp_gt_u32_e32 vcc, s94, v2
	v_cndmask_b32_e32 v26, 0, v26, vcc
	v_cmp_eq_u32_e32 vcc, 0, v2
	v_cndmask_b32_e32 v26, v26, v67, vcc
	v_add_u32_e32 v3, 0xffffff81, v2
	v_or_b32_e32 v27, 0x800000, v8
	v_add_u32_e32 v2, 20, v26
	v_cndmask_b32_e32 v32, v3, v66, vcc
	v_cndmask_b32_e32 v8, v27, v8, vcc
	v_lshlrev_b64 v[2:3], v2, -1
	v_not_b32_e32 v2, v2
	v_lshrrev_b64 v[30:31], v26, v[8:9]
	v_not_b32_e32 v3, v3
	v_and_b32_e32 v2, v8, v2
	v_add_u32_e32 v27, 19, v26
	v_lshrrev_b32_e32 v8, 23, v30
	v_and_b32_e32 v3, 0, v3
	v_lshlrev_b64 v[28:29], v27, 1
	v_add3_u32 v27, v26, v32, v8
	v_bfe_u32 v8, v30, 20, 1
	v_add_u32_e32 v8, -1, v8
	v_cmp_eq_u64_e32 vcc, v[2:3], v[28:29]
	v_cndmask_b32_e32 v2, 0, v8, vcc
	v_add_u32_e32 v2, v2, v30
	v_and_b32_e32 v2, 0xfffff, v2
	v_add_co_u32_e32 v2, vcc, v2, v30
	v_add_u32_e32 v26, 6, v27
	v_addc_co_u32_e32 v3, vcc, 0, v31, vcc
	v_cmp_ne_u32_e32 vcc, 0, v26
                                        ; implicit-def: $vgpr8
	s_and_saveexec_b64 s[2:3], vcc
	s_xor_b64 s[2:3], exec, s[2:3]
; %bb.296:                              ;   in Loop: Header=BB17_256 Depth=2
	v_add_u32_e32 v8, 7, v27
	v_cmp_lt_u64_e32 vcc, s[56:57], v[2:3]
	v_cndmask_b32_e32 v8, v26, v8, vcc
	v_cndmask_b32_e64 v26, 0, 1, vcc
	v_lshrrev_b64 v[2:3], v26, v[2:3]
; %bb.297:                              ;   in Loop: Header=BB17_256 Depth=2
	s_andn2_saveexec_b64 s[2:3], s[2:3]
; %bb.298:                              ;   in Loop: Header=BB17_256 Depth=2
	v_bfe_u32 v8, v2, 23, 1
; %bb.299:                              ;   in Loop: Header=BB17_256 Depth=2
	s_or_b64 exec, exec, s[2:3]
	v_lshrrev_b64 v[2:3], 20, v[2:3]
	v_cmp_gt_i32_e32 vcc, 16, v8
	v_cndmask_b32_e32 v3, 0, v3, vcc
	v_cndmask_b32_e32 v2, 7, v2, vcc
	v_cmp_eq_u64_e64 s[2:3], 0, v[2:3]
	v_min_i32_e32 v3, 15, v8
	v_cmp_eq_u32_e32 vcc, 0, v8
	v_lshlrev_b32_e32 v3, 3, v3
	v_and_or_b32 v2, v2, 7, v3
	s_and_b64 s[2:3], vcc, s[2:3]
	v_cndmask_b32_e64 v2, v2, 0, s[2:3]
	v_or_b32_e32 v2, v2, v5
.LBB17_300:                             ;   in Loop: Header=BB17_256 Depth=2
	s_or_b64 exec, exec, s[14:15]
.LBB17_301:                             ;   in Loop: Header=BB17_256 Depth=2
	s_or_b64 exec, exec, s[12:13]
                                        ; implicit-def: $vgpr3
.LBB17_302:                             ;   in Loop: Header=BB17_256 Depth=2
	s_andn2_saveexec_b64 s[2:3], s[10:11]
	s_cbranch_execz .LBB17_255
; %bb.303:                              ;   in Loop: Header=BB17_256 Depth=2
	v_or_b32_sdwa v3, v3, s95 dst_sel:DWORD dst_unused:UNUSED_PAD src0_sel:BYTE_3 src1_sel:DWORD
	v_cmp_eq_u64_e32 vcc, 0, v[8:9]
	v_cndmask_b32_e32 v2, v3, v2, vcc
	s_branch .LBB17_255
.LBB17_304:
	v_readlane_b32 s0, v77, 3
	v_readlane_b32 s1, v77, 4
	s_or_b64 exec, exec, s[0:1]
	s_mov_b64 s[0:1], 0
	v_readlane_b32 s70, v77, 2
	v_readlane_b32 s72, v77, 1
.LBB17_305:
	s_andn2_b64 vcc, exec, s[0:1]
	s_cbranch_vccnz .LBB17_604
; %bb.306:
	s_and_b32 s0, s78, 15
	s_mov_b32 s1, 0
	s_mul_i32 s58, s45, s44
	s_cmp_lg_u64 s[0:1], 0
	s_cselect_b64 s[0:1], -1, 0
	s_and_b32 s2, s58, 3
	s_cmp_eq_u32 s2, 0
	s_cselect_b64 s[18:19], -1, 0
	s_cmp_lg_u32 s2, 0
	s_cselect_b64 s[2:3], -1, 0
	s_or_b64 s[2:3], s[0:1], s[2:3]
	s_mov_b64 s[0:1], -1
	s_and_b64 vcc, exec, s[2:3]
	s_cbranch_vccz .LBB17_403
; %bb.307:
	s_sub_i32 s0, 0, s78
	s_bfe_u32 s0, s0, 0x20002
	s_min_i32 s20, s0, s58
	v_cmp_gt_i32_e32 vcc, s20, v0
	s_and_saveexec_b64 s[2:3], vcc
	s_cbranch_execz .LBB17_327
; %bb.308:
	s_add_u32 s0, s36, s34
	v_mov_b32_e32 v3, 0
	v_lshlrev_b32_e32 v2, 2, v0
	s_addc_u32 s1, s37, s35
	s_mov_b32 s21, 0
	v_mov_b32_e32 v1, v3
	v_mov_b32_e32 v5, s1
	v_add_co_u32_e32 v4, vcc, s0, v2
	v_addc_co_u32_e32 v5, vcc, 0, v5, vcc
	s_lshl_b32 s22, s68, 2
	s_mov_b32 s23, s21
	s_mov_b64 s[4:5], 0
	s_movk_i32 s24, 0x80
	s_mov_b64 s[6:7], 0x7f800000
	s_mov_b64 s[8:9], 0x43e00001
	s_movk_i32 s25, 0x7a
	s_mov_b64 s[10:11], 0xffffff
	s_movk_i32 s26, 0x7f
	v_mov_b32_e32 v10, 0xffffff82
	v_mov_b32_e32 v11, 0x78
	v_pk_mov_b32 v[6:7], v[0:1], v[0:1] op_sel:[0,1]
	s_branch .LBB17_310
.LBB17_309:                             ;   in Loop: Header=BB17_310 Depth=1
	s_or_b64 exec, exec, s[0:1]
	v_mov_b32_e32 v1, s81
	v_add_co_u32_e32 v12, vcc, s80, v6
	v_addc_co_u32_e32 v13, vcc, v1, v7, vcc
	v_mov_b32_e32 v1, s21
	v_add_co_u32_e32 v6, vcc, s68, v6
	v_addc_co_u32_e32 v7, vcc, v7, v1, vcc
	v_cmp_le_i32_e32 vcc, s20, v6
	v_mov_b32_e32 v1, s23
	s_or_b64 s[4:5], vcc, s[4:5]
	v_add_co_u32_e32 v4, vcc, s22, v4
	v_addc_co_u32_e32 v5, vcc, v5, v1, vcc
	global_store_byte v[12:13], v9, off
	s_andn2_b64 exec, exec, s[4:5]
	s_cbranch_execz .LBB17_327
.LBB17_310:                             ; =>This Inner Loop Header: Depth=1
	global_load_dword v1, v[4:5], off
	v_mov_b32_e32 v13, v3
	s_waitcnt vmcnt(0)
	v_div_scale_f32 v2, s[0:1], s77, s77, v1
	v_rcp_f32_e32 v8, v2
	v_div_scale_f32 v9, vcc, v1, s77, v1
	v_fma_f32 v12, -v2, v8, 1.0
	v_fmac_f32_e32 v8, v12, v8
	v_mul_f32_e32 v12, v9, v8
	v_fma_f32 v14, -v2, v12, v9
	v_fmac_f32_e32 v12, v14, v8
	v_fma_f32 v2, -v2, v12, v9
	v_div_fmas_f32 v2, v2, v8, v12
	v_div_fixup_f32 v8, v2, s77, v1
	v_and_b32_sdwa v1, v8, s24 dst_sel:DWORD dst_unused:UNUSED_PAD src0_sel:BYTE_3 src1_sel:DWORD
	v_and_b32_e32 v12, 0x7f800000, v8
	v_and_b32_e32 v2, 0x7fffff, v8
	v_or_b32_e32 v9, 0x7e, v1
	v_cmp_ne_u64_e32 vcc, s[6:7], v[12:13]
	s_and_saveexec_b64 s[0:1], vcc
	s_xor_b64 s[12:13], exec, s[0:1]
	s_cbranch_execz .LBB17_324
; %bb.311:                              ;   in Loop: Header=BB17_310 Depth=1
	v_and_b32_e32 v12, 0x7fffffff, v8
	v_mov_b32_e32 v13, v3
	v_cmp_gt_u64_e32 vcc, s[8:9], v[12:13]
	s_and_saveexec_b64 s[0:1], vcc
	s_xor_b64 s[14:15], exec, s[0:1]
	s_cbranch_execz .LBB17_323
; %bb.312:                              ;   in Loop: Header=BB17_310 Depth=1
	v_cmp_ne_u32_e32 vcc, 0, v8
	v_mov_b32_e32 v9, 0
	s_and_saveexec_b64 s[16:17], vcc
	s_cbranch_execz .LBB17_322
; %bb.313:                              ;   in Loop: Header=BB17_310 Depth=1
	v_bfe_u32 v8, v8, 23, 8
	v_sub_u32_e32 v12, 0x79, v8
	v_cmp_gt_u32_e32 vcc, s25, v8
	v_cndmask_b32_e32 v12, 0, v12, vcc
	v_cmp_eq_u32_e32 vcc, 0, v8
	v_cndmask_b32_e32 v12, v12, v11, vcc
	v_add_u32_e32 v9, 0xffffff81, v8
	v_or_b32_e32 v13, 0x800000, v2
	v_add_u32_e32 v8, 20, v12
	v_cndmask_b32_e32 v18, v9, v10, vcc
	v_cndmask_b32_e32 v2, v13, v2, vcc
	v_lshlrev_b64 v[8:9], v8, -1
	v_not_b32_e32 v8, v8
	v_lshrrev_b64 v[16:17], v12, v[2:3]
	v_not_b32_e32 v9, v9
	v_and_b32_e32 v8, v2, v8
	v_add_u32_e32 v13, 19, v12
	v_lshrrev_b32_e32 v2, 23, v16
	v_and_b32_e32 v9, 0, v9
	v_lshlrev_b64 v[14:15], v13, 1
	v_add3_u32 v13, v12, v18, v2
	v_bfe_u32 v2, v16, 20, 1
	v_add_u32_e32 v2, -1, v2
	v_cmp_eq_u64_e32 vcc, v[8:9], v[14:15]
	v_cndmask_b32_e32 v2, 0, v2, vcc
	v_add_u32_e32 v2, v2, v16
	v_and_b32_e32 v2, 0xfffff, v2
	v_add_co_u32_e32 v8, vcc, v2, v16
	v_add_u32_e32 v12, 6, v13
	v_addc_co_u32_e32 v9, vcc, 0, v17, vcc
	v_cmp_ne_u32_e32 vcc, 0, v12
                                        ; implicit-def: $vgpr2
	s_and_saveexec_b64 s[0:1], vcc
	s_xor_b64 s[0:1], exec, s[0:1]
; %bb.314:                              ;   in Loop: Header=BB17_310 Depth=1
	v_add_u32_e32 v2, 7, v13
	v_cmp_lt_u64_e32 vcc, s[10:11], v[8:9]
	v_cndmask_b32_e32 v2, v12, v2, vcc
	v_cndmask_b32_e64 v12, 0, 1, vcc
	v_lshrrev_b64 v[8:9], v12, v[8:9]
; %bb.315:                              ;   in Loop: Header=BB17_310 Depth=1
	s_andn2_saveexec_b64 s[0:1], s[0:1]
; %bb.316:                              ;   in Loop: Header=BB17_310 Depth=1
	v_bfe_u32 v2, v8, 23, 1
; %bb.317:                              ;   in Loop: Header=BB17_310 Depth=1
	s_or_b64 exec, exec, s[0:1]
	v_lshrrev_b64 v[8:9], 20, v[8:9]
	v_cmp_gt_i32_e32 vcc, 16, v2
	v_cndmask_b32_e32 v9, 0, v9, vcc
	v_cndmask_b32_e32 v8, 7, v8, vcc
	v_cmp_ne_u32_e32 vcc, 0, v2
	v_cmp_ne_u64_e64 s[0:1], 0, v[8:9]
	s_or_b64 s[0:1], vcc, s[0:1]
                                        ; implicit-def: $vgpr9
	s_and_saveexec_b64 s[28:29], s[0:1]
	s_xor_b64 s[0:1], exec, s[28:29]
; %bb.318:                              ;   in Loop: Header=BB17_310 Depth=1
	v_min_i32_e32 v2, 15, v2
	v_lshl_or_b32 v1, v2, 3, v1
	v_and_or_b32 v9, v8, 7, v1
                                        ; implicit-def: $vgpr1
; %bb.319:                              ;   in Loop: Header=BB17_310 Depth=1
	s_andn2_saveexec_b64 s[0:1], s[0:1]
; %bb.320:                              ;   in Loop: Header=BB17_310 Depth=1
	v_mov_b32_e32 v9, v1
; %bb.321:                              ;   in Loop: Header=BB17_310 Depth=1
	s_or_b64 exec, exec, s[0:1]
.LBB17_322:                             ;   in Loop: Header=BB17_310 Depth=1
	s_or_b64 exec, exec, s[16:17]
.LBB17_323:                             ;   in Loop: Header=BB17_310 Depth=1
	s_andn2_saveexec_b64 s[0:1], s[14:15]
	s_or_b64 exec, exec, s[0:1]
                                        ; implicit-def: $vgpr8
.LBB17_324:                             ;   in Loop: Header=BB17_310 Depth=1
	s_andn2_saveexec_b64 s[0:1], s[12:13]
	s_cbranch_execz .LBB17_309
; %bb.325:                              ;   in Loop: Header=BB17_310 Depth=1
	v_or_b32_sdwa v1, v8, s26 dst_sel:DWORD dst_unused:UNUSED_PAD src0_sel:BYTE_3 src1_sel:DWORD
	v_cmp_eq_u64_e32 vcc, 0, v[2:3]
	v_cndmask_b32_e32 v9, v1, v9, vcc
	s_branch .LBB17_309
.LBB17_326:
                                        ; implicit-def: $sgpr10_sgpr11
	s_branch .LBB17_3
.LBB17_327:
	s_or_b64 exec, exec, s[2:3]
	s_sub_i32 s59, s58, s20
	s_ashr_i32 s0, s59, 31
	s_lshr_b32 s0, s0, 30
	s_add_i32 s0, s59, s0
	s_ashr_i32 s22, s0, 2
	s_ashr_i32 s21, s20, 31
	v_cmp_gt_i32_e32 vcc, s22, v0
	s_and_saveexec_b64 s[2:3], vcc
	s_cbranch_execz .LBB17_378
; %bb.328:
	s_add_u32 s0, s20, s70
	s_addc_u32 s1, s21, s69
	s_add_u32 s0, s0, s72
	s_addc_u32 s1, s1, s71
	s_add_u32 s0, s40, s0
	v_lshlrev_b32_e32 v1, 2, v0
	s_addc_u32 s1, s41, s1
	v_mov_b32_e32 v2, s1
	v_add_co_u32_e32 v6, vcc, s0, v1
	s_lshl_b32 s24, s68, 2
	s_lshl_b64 s[0:1], s[20:21], 2
	s_add_u32 s0, s36, s0
	s_addc_u32 s1, s37, s1
	s_add_u32 s0, s0, s34
	v_addc_co_u32_e32 v7, vcc, 0, v2, vcc
	v_lshlrev_b32_e32 v1, 4, v0
	s_addc_u32 s1, s1, s35
	v_mov_b32_e32 v2, s1
	v_add_co_u32_e32 v1, vcc, s0, v1
	v_addc_co_u32_e32 v2, vcc, 0, v2, vcc
	s_mov_b32 s23, 0
	v_add_co_u32_e32 v8, vcc, 8, v1
	v_addc_co_u32_e32 v9, vcc, 0, v2, vcc
	s_lshl_b32 s25, s68, 4
	s_mov_b32 s26, s23
	s_mov_b64 s[4:5], 0
	v_mov_b32_e32 v11, 0
	s_movk_i32 s27, 0x80
	s_mov_b64 s[6:7], 0x7f800000
	s_mov_b64 s[8:9], 0x43e00001
	s_movk_i32 s28, 0x7a
	s_mov_b64 s[10:11], 0xffffff
	s_movk_i32 s29, 0x7f
	s_mov_b32 s44, 0x4020c0c
	v_mov_b32_e32 v1, 0xffffff82
	v_mov_b32_e32 v14, 0x78
	;; [unrolled: 1-line block ×3, first 2 shown]
	s_branch .LBB17_330
.LBB17_329:                             ;   in Loop: Header=BB17_330 Depth=1
	s_or_b64 exec, exec, s[0:1]
	v_lshlrev_b32_e32 v3, 16, v4
	v_perm_b32 v2, v2, v3, s44
	v_lshlrev_b32_e32 v3, 8, v13
	v_and_b32_e32 v3, 0xff00, v3
	v_and_b32_e32 v4, 0xff, v12
	v_or3_b32 v2, v2, v3, v4
	global_store_dword v[6:7], v2, off
	v_mov_b32_e32 v2, s23
	v_add_co_u32_e32 v6, vcc, s24, v6
	v_add_u32_e32 v15, s68, v15
	v_addc_co_u32_e32 v7, vcc, v7, v2, vcc
	v_cmp_le_i32_e32 vcc, s22, v15
	v_mov_b32_e32 v2, s26
	s_or_b64 s[4:5], vcc, s[4:5]
	v_add_co_u32_e32 v8, vcc, s25, v8
	v_addc_co_u32_e32 v9, vcc, v9, v2, vcc
	s_andn2_b64 exec, exec, s[4:5]
	s_cbranch_execz .LBB17_378
.LBB17_330:                             ; =>This Inner Loop Header: Depth=1
	global_load_dwordx4 v[2:5], v[8:9], off offset:-8
	v_mov_b32_e32 v17, v11
	s_waitcnt vmcnt(0)
	v_div_scale_f32 v10, s[0:1], s77, s77, v2
	v_rcp_f32_e32 v12, v10
	v_div_scale_f32 v13, vcc, v2, s77, v2
	v_fma_f32 v16, -v10, v12, 1.0
	v_fmac_f32_e32 v12, v16, v12
	v_mul_f32_e32 v16, v13, v12
	v_fma_f32 v18, -v10, v16, v13
	v_fmac_f32_e32 v16, v18, v12
	v_fma_f32 v10, -v10, v16, v13
	v_div_fmas_f32 v10, v10, v12, v16
	v_div_fixup_f32 v13, v10, s77, v2
	v_and_b32_sdwa v2, v13, s27 dst_sel:DWORD dst_unused:UNUSED_PAD src0_sel:BYTE_3 src1_sel:DWORD
	v_and_b32_e32 v16, 0x7f800000, v13
	v_and_b32_e32 v10, 0x7fffff, v13
	v_or_b32_e32 v12, 0x7e, v2
	v_cmp_ne_u64_e32 vcc, s[6:7], v[16:17]
	s_and_saveexec_b64 s[0:1], vcc
	s_xor_b64 s[12:13], exec, s[0:1]
	s_cbranch_execz .LBB17_340
; %bb.331:                              ;   in Loop: Header=BB17_330 Depth=1
	v_and_b32_e32 v16, 0x7fffffff, v13
	v_mov_b32_e32 v17, v11
	v_cmp_gt_u64_e32 vcc, s[8:9], v[16:17]
	s_and_saveexec_b64 s[14:15], vcc
	s_cbranch_execz .LBB17_339
; %bb.332:                              ;   in Loop: Header=BB17_330 Depth=1
	v_cmp_ne_u32_e32 vcc, 0, v13
	v_mov_b32_e32 v12, 0
	s_and_saveexec_b64 s[16:17], vcc
	s_cbranch_execz .LBB17_338
; %bb.333:                              ;   in Loop: Header=BB17_330 Depth=1
	v_bfe_u32 v12, v13, 23, 8
	v_sub_u32_e32 v16, 0x79, v12
	v_cmp_gt_u32_e32 vcc, s28, v12
	v_cndmask_b32_e32 v16, 0, v16, vcc
	v_cmp_eq_u32_e32 vcc, 0, v12
	v_cndmask_b32_e32 v16, v16, v14, vcc
	v_add_u32_e32 v13, 0xffffff81, v12
	v_or_b32_e32 v17, 0x800000, v10
	v_add_u32_e32 v12, 20, v16
	v_cndmask_b32_e32 v22, v13, v1, vcc
	v_cndmask_b32_e32 v10, v17, v10, vcc
	v_lshlrev_b64 v[12:13], v12, -1
	v_not_b32_e32 v12, v12
	v_lshrrev_b64 v[20:21], v16, v[10:11]
	v_not_b32_e32 v13, v13
	v_and_b32_e32 v12, v10, v12
	v_add_u32_e32 v17, 19, v16
	v_lshrrev_b32_e32 v10, 23, v20
	v_and_b32_e32 v13, 0, v13
	v_lshlrev_b64 v[18:19], v17, 1
	v_add3_u32 v17, v16, v22, v10
	v_bfe_u32 v10, v20, 20, 1
	v_add_u32_e32 v10, -1, v10
	v_cmp_eq_u64_e32 vcc, v[12:13], v[18:19]
	v_cndmask_b32_e32 v10, 0, v10, vcc
	v_add_u32_e32 v10, v10, v20
	v_and_b32_e32 v10, 0xfffff, v10
	v_add_co_u32_e32 v12, vcc, v10, v20
	v_add_u32_e32 v16, 6, v17
	v_addc_co_u32_e32 v13, vcc, 0, v21, vcc
	v_cmp_ne_u32_e32 vcc, 0, v16
                                        ; implicit-def: $vgpr10
	s_and_saveexec_b64 s[0:1], vcc
	s_xor_b64 s[0:1], exec, s[0:1]
; %bb.334:                              ;   in Loop: Header=BB17_330 Depth=1
	v_add_u32_e32 v10, 7, v17
	v_cmp_lt_u64_e32 vcc, s[10:11], v[12:13]
	v_cndmask_b32_e32 v10, v16, v10, vcc
	v_cndmask_b32_e64 v16, 0, 1, vcc
	v_lshrrev_b64 v[12:13], v16, v[12:13]
; %bb.335:                              ;   in Loop: Header=BB17_330 Depth=1
	s_andn2_saveexec_b64 s[0:1], s[0:1]
; %bb.336:                              ;   in Loop: Header=BB17_330 Depth=1
	v_bfe_u32 v10, v12, 23, 1
; %bb.337:                              ;   in Loop: Header=BB17_330 Depth=1
	s_or_b64 exec, exec, s[0:1]
	v_lshrrev_b64 v[12:13], 20, v[12:13]
	v_cmp_gt_i32_e32 vcc, 16, v10
	v_cndmask_b32_e32 v13, 0, v13, vcc
	v_cndmask_b32_e32 v12, 7, v12, vcc
	v_cmp_eq_u32_e32 vcc, 0, v10
	v_min_i32_e32 v10, 15, v10
	v_cmp_eq_u64_e64 s[0:1], 0, v[12:13]
	v_lshlrev_b32_e32 v10, 3, v10
	v_and_or_b32 v10, v12, 7, v10
	s_and_b64 s[0:1], vcc, s[0:1]
	v_cndmask_b32_e64 v10, v10, 0, s[0:1]
	v_or_b32_e32 v12, v10, v2
.LBB17_338:                             ;   in Loop: Header=BB17_330 Depth=1
	s_or_b64 exec, exec, s[16:17]
.LBB17_339:                             ;   in Loop: Header=BB17_330 Depth=1
	s_or_b64 exec, exec, s[14:15]
                                        ; implicit-def: $vgpr13
.LBB17_340:                             ;   in Loop: Header=BB17_330 Depth=1
	s_andn2_saveexec_b64 s[0:1], s[12:13]
; %bb.341:                              ;   in Loop: Header=BB17_330 Depth=1
	v_or_b32_sdwa v2, v13, s29 dst_sel:DWORD dst_unused:UNUSED_PAD src0_sel:BYTE_3 src1_sel:DWORD
	v_cmp_eq_u64_e32 vcc, 0, v[10:11]
	v_cndmask_b32_e32 v12, v2, v12, vcc
; %bb.342:                              ;   in Loop: Header=BB17_330 Depth=1
	s_or_b64 exec, exec, s[0:1]
	v_div_scale_f32 v2, s[0:1], s77, s77, v3
	v_rcp_f32_e32 v10, v2
	v_div_scale_f32 v13, vcc, v3, s77, v3
	v_mov_b32_e32 v19, v11
	v_fma_f32 v16, -v2, v10, 1.0
	v_fmac_f32_e32 v10, v16, v10
	v_mul_f32_e32 v16, v13, v10
	v_fma_f32 v17, -v2, v16, v13
	v_fmac_f32_e32 v16, v17, v10
	v_fma_f32 v2, -v2, v16, v13
	v_div_fmas_f32 v2, v2, v10, v16
	v_div_fixup_f32 v2, v2, s77, v3
	v_and_b32_sdwa v16, v2, s27 dst_sel:DWORD dst_unused:UNUSED_PAD src0_sel:BYTE_3 src1_sel:DWORD
	v_and_b32_e32 v18, 0x7f800000, v2
	v_and_b32_e32 v10, 0x7fffff, v2
	v_or_b32_e32 v13, 0x7e, v16
	v_cmp_ne_u64_e32 vcc, s[6:7], v[18:19]
	s_and_saveexec_b64 s[0:1], vcc
	s_xor_b64 s[12:13], exec, s[0:1]
	s_cbranch_execz .LBB17_352
; %bb.343:                              ;   in Loop: Header=BB17_330 Depth=1
	v_and_b32_e32 v18, 0x7fffffff, v2
	v_mov_b32_e32 v19, v11
	v_cmp_gt_u64_e32 vcc, s[8:9], v[18:19]
	s_and_saveexec_b64 s[14:15], vcc
	s_cbranch_execz .LBB17_351
; %bb.344:                              ;   in Loop: Header=BB17_330 Depth=1
	v_cmp_ne_u32_e32 vcc, 0, v2
	v_mov_b32_e32 v13, 0
	s_and_saveexec_b64 s[16:17], vcc
	s_cbranch_execz .LBB17_350
; %bb.345:                              ;   in Loop: Header=BB17_330 Depth=1
	v_bfe_u32 v2, v2, 23, 8
	v_sub_u32_e32 v13, 0x79, v2
	v_cmp_gt_u32_e32 vcc, s28, v2
	v_cndmask_b32_e32 v13, 0, v13, vcc
	v_cmp_eq_u32_e32 vcc, 0, v2
	v_cndmask_b32_e32 v13, v13, v14, vcc
	v_add_u32_e32 v3, 0xffffff81, v2
	v_or_b32_e32 v17, 0x800000, v10
	v_add_u32_e32 v2, 20, v13
	v_cndmask_b32_e32 v22, v3, v1, vcc
	v_cndmask_b32_e32 v10, v17, v10, vcc
	v_lshlrev_b64 v[2:3], v2, -1
	v_not_b32_e32 v2, v2
	v_lshrrev_b64 v[20:21], v13, v[10:11]
	v_not_b32_e32 v3, v3
	v_and_b32_e32 v2, v10, v2
	v_add_u32_e32 v17, 19, v13
	v_lshrrev_b32_e32 v10, 23, v20
	v_and_b32_e32 v3, 0, v3
	v_lshlrev_b64 v[18:19], v17, 1
	v_add3_u32 v17, v13, v22, v10
	v_bfe_u32 v10, v20, 20, 1
	v_add_u32_e32 v10, -1, v10
	v_cmp_eq_u64_e32 vcc, v[2:3], v[18:19]
	v_cndmask_b32_e32 v2, 0, v10, vcc
	v_add_u32_e32 v2, v2, v20
	v_and_b32_e32 v2, 0xfffff, v2
	v_add_co_u32_e32 v2, vcc, v2, v20
	v_add_u32_e32 v13, 6, v17
	v_addc_co_u32_e32 v3, vcc, 0, v21, vcc
	v_cmp_ne_u32_e32 vcc, 0, v13
                                        ; implicit-def: $vgpr10
	s_and_saveexec_b64 s[0:1], vcc
	s_xor_b64 s[0:1], exec, s[0:1]
; %bb.346:                              ;   in Loop: Header=BB17_330 Depth=1
	v_add_u32_e32 v10, 7, v17
	v_cmp_lt_u64_e32 vcc, s[10:11], v[2:3]
	v_cndmask_b32_e32 v10, v13, v10, vcc
	v_cndmask_b32_e64 v13, 0, 1, vcc
	v_lshrrev_b64 v[2:3], v13, v[2:3]
; %bb.347:                              ;   in Loop: Header=BB17_330 Depth=1
	s_andn2_saveexec_b64 s[0:1], s[0:1]
; %bb.348:                              ;   in Loop: Header=BB17_330 Depth=1
	v_bfe_u32 v10, v2, 23, 1
; %bb.349:                              ;   in Loop: Header=BB17_330 Depth=1
	s_or_b64 exec, exec, s[0:1]
	v_lshrrev_b64 v[2:3], 20, v[2:3]
	v_cmp_gt_i32_e32 vcc, 16, v10
	v_cndmask_b32_e32 v3, 0, v3, vcc
	v_cndmask_b32_e32 v2, 7, v2, vcc
	v_cmp_eq_u64_e64 s[0:1], 0, v[2:3]
	v_min_i32_e32 v3, 15, v10
	v_cmp_eq_u32_e32 vcc, 0, v10
	v_lshlrev_b32_e32 v3, 3, v3
	v_and_or_b32 v2, v2, 7, v3
	s_and_b64 s[0:1], vcc, s[0:1]
	v_cndmask_b32_e64 v2, v2, 0, s[0:1]
	v_or_b32_e32 v13, v2, v16
.LBB17_350:                             ;   in Loop: Header=BB17_330 Depth=1
	s_or_b64 exec, exec, s[16:17]
.LBB17_351:                             ;   in Loop: Header=BB17_330 Depth=1
	s_or_b64 exec, exec, s[14:15]
                                        ; implicit-def: $vgpr2
.LBB17_352:                             ;   in Loop: Header=BB17_330 Depth=1
	s_andn2_saveexec_b64 s[0:1], s[12:13]
; %bb.353:                              ;   in Loop: Header=BB17_330 Depth=1
	v_or_b32_sdwa v2, v2, s29 dst_sel:DWORD dst_unused:UNUSED_PAD src0_sel:BYTE_3 src1_sel:DWORD
	v_cmp_eq_u64_e32 vcc, 0, v[10:11]
	v_cndmask_b32_e32 v13, v2, v13, vcc
; %bb.354:                              ;   in Loop: Header=BB17_330 Depth=1
	s_or_b64 exec, exec, s[0:1]
	v_div_scale_f32 v2, s[0:1], s77, s77, v4
	v_rcp_f32_e32 v3, v2
	v_div_scale_f32 v10, vcc, v4, s77, v4
	v_mov_b32_e32 v19, v11
	v_fma_f32 v16, -v2, v3, 1.0
	v_fmac_f32_e32 v3, v16, v3
	v_mul_f32_e32 v16, v10, v3
	v_fma_f32 v17, -v2, v16, v10
	v_fmac_f32_e32 v16, v17, v3
	v_fma_f32 v2, -v2, v16, v10
	v_div_fmas_f32 v2, v2, v3, v16
	v_div_fixup_f32 v2, v2, s77, v4
	v_and_b32_sdwa v16, v2, s27 dst_sel:DWORD dst_unused:UNUSED_PAD src0_sel:BYTE_3 src1_sel:DWORD
	v_and_b32_e32 v18, 0x7f800000, v2
	v_and_b32_e32 v10, 0x7fffff, v2
	v_or_b32_e32 v4, 0x7e, v16
	v_cmp_ne_u64_e32 vcc, s[6:7], v[18:19]
	s_and_saveexec_b64 s[0:1], vcc
	s_xor_b64 s[12:13], exec, s[0:1]
	s_cbranch_execz .LBB17_364
; %bb.355:                              ;   in Loop: Header=BB17_330 Depth=1
	v_and_b32_e32 v18, 0x7fffffff, v2
	v_mov_b32_e32 v19, v11
	v_cmp_gt_u64_e32 vcc, s[8:9], v[18:19]
	s_and_saveexec_b64 s[14:15], vcc
	s_cbranch_execz .LBB17_363
; %bb.356:                              ;   in Loop: Header=BB17_330 Depth=1
	v_cmp_ne_u32_e32 vcc, 0, v2
	v_mov_b32_e32 v4, 0
	s_and_saveexec_b64 s[16:17], vcc
	s_cbranch_execz .LBB17_362
; %bb.357:                              ;   in Loop: Header=BB17_330 Depth=1
	v_bfe_u32 v2, v2, 23, 8
	v_sub_u32_e32 v4, 0x79, v2
	v_cmp_gt_u32_e32 vcc, s28, v2
	v_cndmask_b32_e32 v4, 0, v4, vcc
	v_cmp_eq_u32_e32 vcc, 0, v2
	v_cndmask_b32_e32 v4, v4, v14, vcc
	v_add_u32_e32 v3, 0xffffff81, v2
	v_or_b32_e32 v17, 0x800000, v10
	v_add_u32_e32 v2, 20, v4
	v_cndmask_b32_e32 v22, v3, v1, vcc
	v_cndmask_b32_e32 v10, v17, v10, vcc
	v_lshlrev_b64 v[2:3], v2, -1
	v_not_b32_e32 v2, v2
	v_lshrrev_b64 v[20:21], v4, v[10:11]
	v_not_b32_e32 v3, v3
	v_and_b32_e32 v2, v10, v2
	v_add_u32_e32 v17, 19, v4
	v_lshrrev_b32_e32 v10, 23, v20
	v_and_b32_e32 v3, 0, v3
	v_lshlrev_b64 v[18:19], v17, 1
	v_add3_u32 v17, v4, v22, v10
	v_bfe_u32 v4, v20, 20, 1
	v_add_u32_e32 v4, -1, v4
	v_cmp_eq_u64_e32 vcc, v[2:3], v[18:19]
	v_cndmask_b32_e32 v2, 0, v4, vcc
	v_add_u32_e32 v2, v2, v20
	v_and_b32_e32 v2, 0xfffff, v2
	v_add_co_u32_e32 v2, vcc, v2, v20
	v_add_u32_e32 v10, 6, v17
	v_addc_co_u32_e32 v3, vcc, 0, v21, vcc
	v_cmp_ne_u32_e32 vcc, 0, v10
                                        ; implicit-def: $vgpr4
	s_and_saveexec_b64 s[0:1], vcc
	s_xor_b64 s[0:1], exec, s[0:1]
; %bb.358:                              ;   in Loop: Header=BB17_330 Depth=1
	v_add_u32_e32 v4, 7, v17
	v_cmp_lt_u64_e32 vcc, s[10:11], v[2:3]
	v_cndmask_b32_e32 v4, v10, v4, vcc
	v_cndmask_b32_e64 v10, 0, 1, vcc
	v_lshrrev_b64 v[2:3], v10, v[2:3]
; %bb.359:                              ;   in Loop: Header=BB17_330 Depth=1
	s_andn2_saveexec_b64 s[0:1], s[0:1]
; %bb.360:                              ;   in Loop: Header=BB17_330 Depth=1
	v_bfe_u32 v4, v2, 23, 1
; %bb.361:                              ;   in Loop: Header=BB17_330 Depth=1
	s_or_b64 exec, exec, s[0:1]
	v_lshrrev_b64 v[2:3], 20, v[2:3]
	v_cmp_gt_i32_e32 vcc, 16, v4
	v_cndmask_b32_e32 v3, 0, v3, vcc
	v_cndmask_b32_e32 v2, 7, v2, vcc
	v_cmp_eq_u64_e64 s[0:1], 0, v[2:3]
	v_min_i32_e32 v3, 15, v4
	v_cmp_eq_u32_e32 vcc, 0, v4
	v_lshlrev_b32_e32 v3, 3, v3
	v_and_or_b32 v2, v2, 7, v3
	s_and_b64 s[0:1], vcc, s[0:1]
	v_cndmask_b32_e64 v2, v2, 0, s[0:1]
	v_or_b32_e32 v4, v2, v16
.LBB17_362:                             ;   in Loop: Header=BB17_330 Depth=1
	s_or_b64 exec, exec, s[16:17]
.LBB17_363:                             ;   in Loop: Header=BB17_330 Depth=1
	s_or_b64 exec, exec, s[14:15]
                                        ; implicit-def: $vgpr2
.LBB17_364:                             ;   in Loop: Header=BB17_330 Depth=1
	s_andn2_saveexec_b64 s[0:1], s[12:13]
; %bb.365:                              ;   in Loop: Header=BB17_330 Depth=1
	v_or_b32_sdwa v2, v2, s29 dst_sel:DWORD dst_unused:UNUSED_PAD src0_sel:BYTE_3 src1_sel:DWORD
	v_cmp_eq_u64_e32 vcc, 0, v[10:11]
	v_cndmask_b32_e32 v4, v2, v4, vcc
; %bb.366:                              ;   in Loop: Header=BB17_330 Depth=1
	s_or_b64 exec, exec, s[0:1]
	v_div_scale_f32 v2, s[0:1], s77, s77, v5
	v_rcp_f32_e32 v3, v2
	v_div_scale_f32 v10, vcc, v5, s77, v5
	v_fma_f32 v16, -v2, v3, 1.0
	v_fmac_f32_e32 v3, v16, v3
	v_mul_f32_e32 v16, v10, v3
	v_fma_f32 v17, -v2, v16, v10
	v_fmac_f32_e32 v16, v17, v3
	v_fma_f32 v2, -v2, v16, v10
	v_div_fmas_f32 v2, v2, v3, v16
	v_div_fixup_f32 v3, v2, s77, v5
	v_and_b32_sdwa v5, v3, s27 dst_sel:DWORD dst_unused:UNUSED_PAD src0_sel:BYTE_3 src1_sel:DWORD
	v_and_b32_e32 v16, 0x7f800000, v3
	v_mov_b32_e32 v17, v11
	v_and_b32_e32 v10, 0x7fffff, v3
	v_or_b32_e32 v2, 0x7e, v5
	v_cmp_ne_u64_e32 vcc, s[6:7], v[16:17]
	s_and_saveexec_b64 s[0:1], vcc
	s_xor_b64 s[12:13], exec, s[0:1]
	s_cbranch_execz .LBB17_376
; %bb.367:                              ;   in Loop: Header=BB17_330 Depth=1
	v_and_b32_e32 v16, 0x7fffffff, v3
	v_mov_b32_e32 v17, v11
	v_cmp_gt_u64_e32 vcc, s[8:9], v[16:17]
	s_and_saveexec_b64 s[14:15], vcc
	s_cbranch_execz .LBB17_375
; %bb.368:                              ;   in Loop: Header=BB17_330 Depth=1
	v_cmp_ne_u32_e32 vcc, 0, v3
	v_mov_b32_e32 v2, 0
	s_and_saveexec_b64 s[16:17], vcc
	s_cbranch_execz .LBB17_374
; %bb.369:                              ;   in Loop: Header=BB17_330 Depth=1
	v_bfe_u32 v2, v3, 23, 8
	v_sub_u32_e32 v16, 0x79, v2
	v_cmp_gt_u32_e32 vcc, s28, v2
	v_cndmask_b32_e32 v16, 0, v16, vcc
	v_cmp_eq_u32_e32 vcc, 0, v2
	v_cndmask_b32_e32 v16, v16, v14, vcc
	v_add_u32_e32 v3, 0xffffff81, v2
	v_or_b32_e32 v17, 0x800000, v10
	v_add_u32_e32 v2, 20, v16
	v_cndmask_b32_e32 v22, v3, v1, vcc
	v_cndmask_b32_e32 v10, v17, v10, vcc
	v_lshlrev_b64 v[2:3], v2, -1
	v_not_b32_e32 v2, v2
	v_lshrrev_b64 v[20:21], v16, v[10:11]
	v_not_b32_e32 v3, v3
	v_and_b32_e32 v2, v10, v2
	v_add_u32_e32 v17, 19, v16
	v_lshrrev_b32_e32 v10, 23, v20
	v_and_b32_e32 v3, 0, v3
	v_lshlrev_b64 v[18:19], v17, 1
	v_add3_u32 v17, v16, v22, v10
	v_bfe_u32 v10, v20, 20, 1
	v_add_u32_e32 v10, -1, v10
	v_cmp_eq_u64_e32 vcc, v[2:3], v[18:19]
	v_cndmask_b32_e32 v2, 0, v10, vcc
	v_add_u32_e32 v2, v2, v20
	v_and_b32_e32 v2, 0xfffff, v2
	v_add_co_u32_e32 v2, vcc, v2, v20
	v_add_u32_e32 v16, 6, v17
	v_addc_co_u32_e32 v3, vcc, 0, v21, vcc
	v_cmp_ne_u32_e32 vcc, 0, v16
                                        ; implicit-def: $vgpr10
	s_and_saveexec_b64 s[0:1], vcc
	s_xor_b64 s[0:1], exec, s[0:1]
; %bb.370:                              ;   in Loop: Header=BB17_330 Depth=1
	v_add_u32_e32 v10, 7, v17
	v_cmp_lt_u64_e32 vcc, s[10:11], v[2:3]
	v_cndmask_b32_e32 v10, v16, v10, vcc
	v_cndmask_b32_e64 v16, 0, 1, vcc
	v_lshrrev_b64 v[2:3], v16, v[2:3]
; %bb.371:                              ;   in Loop: Header=BB17_330 Depth=1
	s_andn2_saveexec_b64 s[0:1], s[0:1]
; %bb.372:                              ;   in Loop: Header=BB17_330 Depth=1
	v_bfe_u32 v10, v2, 23, 1
; %bb.373:                              ;   in Loop: Header=BB17_330 Depth=1
	s_or_b64 exec, exec, s[0:1]
	v_lshrrev_b64 v[2:3], 20, v[2:3]
	v_cmp_gt_i32_e32 vcc, 16, v10
	v_cndmask_b32_e32 v3, 0, v3, vcc
	v_cndmask_b32_e32 v2, 7, v2, vcc
	v_cmp_eq_u64_e64 s[0:1], 0, v[2:3]
	v_min_i32_e32 v3, 15, v10
	v_cmp_eq_u32_e32 vcc, 0, v10
	v_lshlrev_b32_e32 v3, 3, v3
	v_and_or_b32 v2, v2, 7, v3
	s_and_b64 s[0:1], vcc, s[0:1]
	v_cndmask_b32_e64 v2, v2, 0, s[0:1]
	v_or_b32_e32 v2, v2, v5
.LBB17_374:                             ;   in Loop: Header=BB17_330 Depth=1
	s_or_b64 exec, exec, s[16:17]
.LBB17_375:                             ;   in Loop: Header=BB17_330 Depth=1
	s_or_b64 exec, exec, s[14:15]
                                        ; implicit-def: $vgpr3
.LBB17_376:                             ;   in Loop: Header=BB17_330 Depth=1
	s_andn2_saveexec_b64 s[0:1], s[12:13]
	s_cbranch_execz .LBB17_329
; %bb.377:                              ;   in Loop: Header=BB17_330 Depth=1
	v_or_b32_sdwa v3, v3, s29 dst_sel:DWORD dst_unused:UNUSED_PAD src0_sel:BYTE_3 src1_sel:DWORD
	v_cmp_eq_u64_e32 vcc, 0, v[10:11]
	v_cndmask_b32_e32 v2, v3, v2, vcc
	s_branch .LBB17_329
.LBB17_378:
	s_or_b64 exec, exec, s[2:3]
	v_lshl_add_u32 v2, s22, 2, v0
	v_cmp_gt_i32_e32 vcc, s59, v2
	s_and_saveexec_b64 s[22:23], vcc
	s_cbranch_execz .LBB17_402
; %bb.379:
	v_cvt_f32_u32_e32 v1, s68
	v_add_u32_e32 v3, s68, v2
	v_mov_b32_e32 v4, s68
	s_sub_i32 s2, 0, s68
	v_rcp_iflag_f32_e32 v1, v1
	v_cmp_gt_i32_e32 vcc, s59, v3
	v_max_i32_e32 v5, s59, v3
	v_addc_co_u32_e64 v3, s[0:1], v2, v4, vcc
	v_mul_f32_e32 v1, 0x4f7ffffe, v1
	v_cvt_u32_f32_e32 v1, v1
	v_sub_u32_e32 v3, v5, v3
	s_cmp_eq_u32 s68, 1
	v_mul_lo_u32 v4, s2, v1
	v_mul_hi_u32 v4, v1, v4
	v_add_u32_e32 v1, v1, v4
	v_mul_hi_u32 v1, v3, v1
	v_mul_lo_u32 v4, v1, s68
	v_sub_u32_e32 v3, v3, v4
	v_add_u32_e32 v5, 1, v1
	v_cmp_le_u32_e64 s[0:1], s68, v3
	v_subrev_u32_e32 v4, s68, v3
	v_cndmask_b32_e64 v1, v1, v5, s[0:1]
	v_cndmask_b32_e64 v3, v3, v4, s[0:1]
	v_add_u32_e32 v4, 1, v1
	v_cmp_le_u32_e64 s[0:1], s68, v3
	v_cndmask_b32_e64 v1, v1, v4, s[0:1]
	v_addc_co_u32_e32 v1, vcc, 1, v1, vcc
	v_cmp_lt_u32_e32 vcc, 1, v1
	s_cselect_b64 s[0:1], -1, 0
	s_and_b64 s[2:3], vcc, s[0:1]
	s_mov_b64 s[0:1], -1
	s_and_saveexec_b64 s[24:25], s[2:3]
	s_cbranch_execz .LBB17_383
; %bb.380:
	s_lshl_b64 s[0:1], s[20:21], 2
	s_add_u32 s60, s78, s0
	v_readlane_b32 s0, v77, 0
	s_addc_u32 s0, s0, s1
	s_add_u32 s61, s80, s20
	s_addc_u32 s1, s81, s21
	v_and_b32_e32 v3, -2, v1
	s_mov_b32 s62, s77
	s_mov_b64 s[26:27], 0
	v_mov_b32_e32 v12, s1
	v_mov_b32_e32 v13, s0
	s_movk_i32 s63, 0x80
	s_mov_b64 s[28:29], 0x7f800000
	s_mov_b64 s[44:45], 0x43e00000
	;; [unrolled: 1-line block ×3, first 2 shown]
	s_movk_i32 s64, 0x7a
	v_mov_b32_e32 v14, 0xffffff82
	v_mov_b32_e32 v15, 0x78
	s_mov_b64 s[48:49], 0xffffff
	s_movk_i32 s65, 0x7f
	v_mov_b32_e32 v5, 0
	v_mov_b32_e32 v6, v2
	;; [unrolled: 1-line block ×3, first 2 shown]
.LBB17_381:                             ; =>This Inner Loop Header: Depth=1
	v_ashrrev_i32_e32 v7, 31, v6
	v_lshlrev_b64 v[8:9], 2, v[6:7]
	v_add_co_u32_e32 v8, vcc, s60, v8
	v_addc_co_u32_e32 v9, vcc, v13, v9, vcc
	global_load_dwordx2 v[18:19], v[8:9], off
	v_add_co_u32_e32 v10, vcc, s61, v6
	v_addc_co_u32_e32 v11, vcc, v12, v7, vcc
	v_mov_b32_e32 v23, v5
	v_mov_b32_e32 v27, v5
	;; [unrolled: 1-line block ×9, first 2 shown]
	v_add_u32_e32 v16, -2, v16
	v_add_u32_e32 v6, 2, v6
	s_waitcnt vmcnt(0)
	v_div_scale_f32 v4, s[0:1], s62, s62, v19
	v_rcp_f32_e32 v17, v4
	v_div_scale_f32 v8, s[0:1], s77, s77, v18
	v_rcp_f32_e32 v20, v8
	v_fma_f32 v24, -v4, v17, 1.0
	v_div_scale_f32 v7, vcc, v19, s62, v19
	v_fmac_f32_e32 v17, v24, v17
	v_fma_f32 v26, -v8, v20, 1.0
	v_mul_f32_e32 v24, v7, v17
	v_div_scale_f32 v22, s[0:1], v18, s77, v18
	v_fmac_f32_e32 v20, v26, v20
	v_fma_f32 v28, -v4, v24, v7
	v_mul_f32_e32 v26, v22, v20
	v_fmac_f32_e32 v24, v28, v17
	v_fma_f32 v30, -v8, v26, v22
	v_fma_f32 v4, -v4, v24, v7
	v_fmac_f32_e32 v26, v30, v20
	v_div_fmas_f32 v4, v4, v17, v24
	v_fma_f32 v7, -v8, v26, v22
	v_div_fixup_f32 v17, v4, s62, v19
	s_mov_b64 vcc, s[0:1]
	v_div_fmas_f32 v4, v7, v20, v26
	v_and_b32_e32 v22, 0x7f800000, v17
	v_and_b32_e32 v26, 0x7fffffff, v17
	v_div_fixup_f32 v7, v4, s77, v18
	v_cmp_ne_u64_e64 s[2:3], s[28:29], v[22:23]
	v_cmp_gt_u64_e64 s[12:13], s[46:47], v[26:27]
	v_bfe_u32 v18, v17, 23, 8
	v_cmp_ne_u32_e64 s[10:11], 0, v17
	v_bfe_u32 v19, v7, 23, 8
	v_and_b32_e32 v20, 0x7f800000, v7
	s_and_b64 s[50:51], s[2:3], s[12:13]
	v_sub_u32_e32 v23, 0x79, v18
	v_cmp_ne_u64_e64 s[6:7], s[28:29], v[20:21]
	v_sub_u32_e32 v21, 0x79, v19
	v_cmp_gt_u32_e64 s[12:13], s64, v18
	s_and_b64 s[52:53], s[50:51], s[10:11]
	v_cmp_gt_u32_e64 s[10:11], s64, v19
	v_and_b32_e32 v4, 0x7fffff, v7
	v_and_b32_e32 v24, 0x7fffffff, v7
	v_add_u32_e32 v22, 0xffffff81, v18
	v_cndmask_b32_e64 v23, 0, v23, s[12:13]
	v_cmp_eq_u32_e64 s[12:13], 0, v18
	v_cndmask_b32_e64 v18, 0, v21, s[10:11]
	v_cmp_eq_u32_e64 s[10:11], 0, v19
	v_cmp_lt_u64_e64 s[8:9], s[44:45], v[24:25]
	v_cmp_gt_u64_e64 s[16:17], s[46:47], v[24:25]
	v_or_b32_e32 v24, 0x800000, v4
	v_cndmask_b32_e64 v40, v23, v15, s[12:13]
	v_cndmask_b32_e64 v41, v18, v15, s[10:11]
	v_and_b32_e32 v8, 0x7fffff, v17
	v_cndmask_b32_e64 v28, v24, v4, s[10:11]
	v_add_u32_e32 v18, 20, v40
	v_add_u32_e32 v24, 20, v41
	v_cmp_lt_u64_e64 s[4:5], s[44:45], v[26:27]
	v_or_b32_e32 v26, 0x800000, v8
	v_add_u32_e32 v20, 0xffffff81, v19
	v_lshlrev_b64 v[18:19], v18, -1
	v_lshlrev_b64 v[24:25], v24, -1
	v_cndmask_b32_e64 v30, v26, v8, s[12:13]
	v_not_b32_e32 v25, v18
	v_not_b32_e32 v24, v24
	v_cndmask_b32_e64 v26, v20, v14, s[10:11]
	v_add_u32_e32 v20, 19, v40
	v_and_b32_e32 v32, v30, v25
	v_and_b32_e32 v34, v28, v24
	v_lshrrev_b64 v[24:25], v40, v[30:31]
	v_cndmask_b32_e64 v39, v22, v14, s[12:13]
	v_add_u32_e32 v19, 19, v41
	v_lshlrev_b64 v[20:21], v20, 1
	v_lshrrev_b64 v[22:23], v41, v[28:29]
	v_lshrrev_b32_e32 v29, 23, v24
	v_bfe_u32 v31, v24, 20, 1
	v_lshlrev_b64 v[18:19], v19, 1
	v_add3_u32 v29, v40, v39, v29
	v_bfe_u32 v39, v22, 20, 1
	v_add_u32_e32 v31, -1, v31
	v_cmp_eq_u64_e64 s[10:11], v[32:33], v[20:21]
	v_add_u32_e32 v39, -1, v39
	v_cndmask_b32_e64 v20, 0, v31, s[10:11]
	v_cmp_eq_u64_e64 s[10:11], v[34:35], v[18:19]
	v_cndmask_b32_e64 v18, 0, v39, s[10:11]
	v_add_u32_e32 v18, v18, v22
	v_and_b32_e32 v18, 0xfffff, v18
	v_add_u32_e32 v19, v20, v24
	v_add_co_u32_e64 v18, s[10:11], v18, v22
	v_and_b32_e32 v20, 0xfffff, v19
	v_addc_co_u32_e64 v19, s[10:11], 0, v23, s[10:11]
	v_lshrrev_b32_e32 v28, 23, v22
	v_add_co_u32_e64 v20, s[10:11], v20, v24
	v_add3_u32 v26, v41, v26, v28
	v_add_u32_e32 v30, 6, v29
	v_addc_co_u32_e64 v21, s[10:11], 0, v25, s[10:11]
	v_cmp_ne_u32_e64 s[14:15], 0, v7
	s_and_b64 s[56:57], s[6:7], s[16:17]
	v_add_u32_e32 v28, 6, v26
	v_cmp_ne_u32_e64 s[10:11], 0, v30
	v_add_u32_e32 v22, 7, v29
	v_cmp_lt_u64_e64 s[16:17], s[48:49], v[20:21]
	s_and_b64 s[54:55], s[56:57], s[14:15]
	v_cmp_ne_u32_e64 s[12:13], 0, v28
	v_add_u32_e32 v23, 7, v26
	v_cmp_lt_u64_e64 s[14:15], s[48:49], v[18:19]
	v_cndmask_b32_e64 v22, v30, v22, s[16:17]
	v_bfe_u32 v25, v20, 23, 1
	s_and_b64 s[10:11], s[52:53], s[10:11]
	v_cndmask_b32_e64 v23, v28, v23, s[14:15]
	v_bfe_u32 v24, v18, 23, 1
	v_cndmask_b32_e64 v22, v25, v22, s[10:11]
	s_and_b64 s[12:13], s[54:55], s[12:13]
	s_and_b64 s[10:11], s[10:11], s[16:17]
	v_cndmask_b32_e64 v23, v24, v23, s[12:13]
	v_cndmask_b32_e64 v24, 0, 1, s[10:11]
	s_and_b64 s[10:11], s[12:13], s[14:15]
	v_cndmask_b32_e64 v25, 0, 1, s[10:11]
	v_lshrrev_b64 v[18:19], v25, v[18:19]
	v_and_b32_sdwa v36, v17, s63 dst_sel:DWORD dst_unused:UNUSED_PAD src0_sel:BYTE_3 src1_sel:DWORD
	v_lshrrev_b64 v[20:21], v24, v[20:21]
	v_lshrrev_b64 v[18:19], 20, v[18:19]
	v_cmp_gt_i32_e64 s[10:11], 16, v23
	s_and_b64 s[66:67], s[2:3], s[4:5]
	v_cmp_eq_u64_e64 s[2:3], 0, v[8:9]
	v_cmp_eq_u32_e32 vcc, 0, v17
	v_and_b32_sdwa v37, v7, s63 dst_sel:DWORD dst_unused:UNUSED_PAD src0_sel:BYTE_3 src1_sel:DWORD
	v_or_b32_e32 v38, 0x7e, v36
	v_lshrrev_b64 v[20:21], 20, v[20:21]
	v_cndmask_b32_e64 v19, 0, v19, s[10:11]
	v_cndmask_b32_e64 v18, 7, v18, s[10:11]
	v_cmp_gt_i32_e64 s[10:11], 16, v22
	s_and_b64 s[6:7], s[6:7], s[8:9]
	v_or_b32_sdwa v17, v17, s65 dst_sel:DWORD dst_unused:UNUSED_PAD src0_sel:BYTE_3 src1_sel:DWORD
	v_cmp_eq_u64_e64 s[4:5], 0, v[4:5]
	s_or_b64 s[2:3], s[66:67], s[2:3]
	v_cmp_eq_u32_e64 s[0:1], 0, v7
	v_or_b32_e32 v27, 0x7e, v37
	v_cndmask_b32_e64 v21, 0, v21, s[10:11]
	v_cndmask_b32_e64 v20, 7, v20, s[10:11]
	v_cmp_eq_u32_e64 s[12:13], 0, v23
	v_cmp_eq_u64_e64 s[16:17], 0, v[18:19]
	v_or_b32_sdwa v7, v7, s65 dst_sel:DWORD dst_unused:UNUSED_PAD src0_sel:BYTE_3 src1_sel:DWORD
	v_cndmask_b32_e64 v4, v17, v38, s[2:3]
	s_or_b64 s[2:3], s[6:7], s[4:5]
	v_cmp_eq_u32_e64 s[10:11], 0, v22
	v_cmp_eq_u64_e64 s[14:15], 0, v[20:21]
	s_and_b64 s[12:13], s[12:13], s[16:17]
	v_cndmask_b32_e64 v7, v7, v27, s[2:3]
	s_and_b64 s[0:1], s[56:57], s[0:1]
	s_and_b64 s[10:11], s[10:11], s[14:15]
	v_min_i32_e32 v19, 15, v22
	s_and_b64 s[2:3], s[50:51], vcc
	v_cndmask_b32_e64 v7, v7, 0, s[0:1]
	s_and_b64 vcc, s[54:55], s[12:13]
	s_xor_b64 s[14:15], s[10:11], -1
	v_min_i32_e32 v21, 15, v23
	v_lshl_or_b32 v19, v19, 3, v36
	v_cndmask_b32_e64 v4, v4, 0, s[2:3]
	v_cndmask_b32_e32 v7, v7, v37, vcc
	s_and_b64 vcc, s[52:53], s[10:11]
	s_xor_b64 s[16:17], s[12:13], -1
	v_lshl_or_b32 v21, v21, 3, v37
	v_and_or_b32 v19, v20, 7, v19
	v_cndmask_b32_e32 v4, v4, v36, vcc
	s_and_b64 vcc, s[52:53], s[14:15]
	v_and_or_b32 v18, v18, 7, v21
	v_cndmask_b32_e32 v4, v4, v19, vcc
	s_and_b64 vcc, s[54:55], s[16:17]
	v_lshlrev_b16_e32 v4, 8, v4
	v_cndmask_b32_e32 v7, v7, v18, vcc
	v_cmp_eq_u32_e32 vcc, 0, v16
	v_or_b32_sdwa v4, v7, v4 dst_sel:DWORD dst_unused:UNUSED_PAD src0_sel:BYTE_0 src1_sel:DWORD
	s_or_b64 s[26:27], vcc, s[26:27]
	global_store_short v[10:11], v4, off
	s_andn2_b64 exec, exec, s[26:27]
	s_cbranch_execnz .LBB17_381
; %bb.382:
	s_or_b64 exec, exec, s[26:27]
	v_cmp_ne_u32_e32 vcc, v1, v3
	v_add_u32_e32 v2, v2, v3
	s_orn2_b64 s[0:1], vcc, exec
.LBB17_383:
	s_or_b64 exec, exec, s[24:25]
	s_and_b64 exec, exec, s[0:1]
	s_cbranch_execz .LBB17_402
; %bb.384:
	s_lshl_b64 s[0:1], s[20:21], 2
	s_add_u32 s0, s34, s0
	s_addc_u32 s1, s35, s1
	v_ashrrev_i32_e32 v3, 31, v2
	s_add_u32 s0, s36, s0
	v_lshlrev_b64 v[6:7], 2, v[2:3]
	s_addc_u32 s1, s37, s1
	s_lshl_b32 s25, s68, 2
	v_add_co_u32_e32 v6, vcc, s0, v6
	s_add_u32 s0, s20, s70
	v_mov_b32_e32 v1, s1
	s_addc_u32 s1, s21, s69
	s_add_u32 s0, s0, s72
	s_addc_u32 s1, s1, s71
	s_add_u32 s0, s40, s0
	v_addc_co_u32_e32 v7, vcc, v1, v7, vcc
	s_addc_u32 s1, s41, s1
	v_mov_b32_e32 v4, s1
	v_add_co_u32_e32 v1, vcc, s0, v2
	s_mov_b32 s24, 0
	v_mov_b32_e32 v5, 0
	v_addc_co_u32_e32 v3, vcc, v4, v3, vcc
	s_mov_b64 s[2:3], 0
	s_movk_i32 s20, 0x80
	s_mov_b64 s[4:5], 0x7f800000
	s_mov_b64 s[6:7], 0x43e00001
	s_movk_i32 s21, 0x7a
	s_mov_b64 s[8:9], 0xffffff
	s_movk_i32 s26, 0x7f
	v_mov_b32_e32 v10, 0xffffff82
	v_mov_b32_e32 v11, 0x78
	s_mov_b64 s[10:11], 0
	s_branch .LBB17_386
.LBB17_385:                             ;   in Loop: Header=BB17_386 Depth=1
	s_or_b64 exec, exec, s[0:1]
	v_mov_b32_e32 v4, s11
	v_add_co_u32_e32 v12, vcc, s10, v1
	s_add_u32 s10, s10, s68
	v_addc_co_u32_e32 v13, vcc, v3, v4, vcc
	v_add_u32_e32 v4, s10, v2
	s_addc_u32 s11, s11, 0
	v_cmp_le_i32_e32 vcc, s59, v4
	v_mov_b32_e32 v8, s24
	s_or_b64 s[2:3], vcc, s[2:3]
	v_add_co_u32_e32 v6, vcc, s25, v6
	v_addc_co_u32_e32 v7, vcc, v7, v8, vcc
	global_store_byte v[12:13], v9, off
	s_andn2_b64 exec, exec, s[2:3]
	s_cbranch_execz .LBB17_402
.LBB17_386:                             ; =>This Inner Loop Header: Depth=1
	global_load_dword v4, v[6:7], off
	v_mov_b32_e32 v15, v5
	s_waitcnt vmcnt(0)
	v_div_scale_f32 v8, s[0:1], s77, s77, v4
	v_rcp_f32_e32 v9, v8
	v_div_scale_f32 v12, vcc, v4, s77, v4
	v_fma_f32 v13, -v8, v9, 1.0
	v_fmac_f32_e32 v9, v13, v9
	v_mul_f32_e32 v13, v12, v9
	v_fma_f32 v14, -v8, v13, v12
	v_fmac_f32_e32 v13, v14, v9
	v_fma_f32 v8, -v8, v13, v12
	v_div_fmas_f32 v8, v8, v9, v13
	v_div_fixup_f32 v8, v8, s77, v4
	v_and_b32_sdwa v12, v8, s20 dst_sel:DWORD dst_unused:UNUSED_PAD src0_sel:BYTE_3 src1_sel:DWORD
	v_and_b32_e32 v14, 0x7f800000, v8
	v_and_b32_e32 v4, 0x7fffff, v8
	v_or_b32_e32 v9, 0x7e, v12
	v_cmp_ne_u64_e32 vcc, s[4:5], v[14:15]
	s_and_saveexec_b64 s[0:1], vcc
	s_xor_b64 s[12:13], exec, s[0:1]
	s_cbranch_execz .LBB17_400
; %bb.387:                              ;   in Loop: Header=BB17_386 Depth=1
	v_and_b32_e32 v14, 0x7fffffff, v8
	v_mov_b32_e32 v15, v5
	v_cmp_gt_u64_e32 vcc, s[6:7], v[14:15]
	s_and_saveexec_b64 s[0:1], vcc
	s_xor_b64 s[14:15], exec, s[0:1]
	s_cbranch_execz .LBB17_399
; %bb.388:                              ;   in Loop: Header=BB17_386 Depth=1
	v_cmp_ne_u32_e32 vcc, 0, v8
	v_mov_b32_e32 v9, 0
	s_and_saveexec_b64 s[16:17], vcc
	s_cbranch_execz .LBB17_398
; %bb.389:                              ;   in Loop: Header=BB17_386 Depth=1
	v_bfe_u32 v8, v8, 23, 8
	v_sub_u32_e32 v13, 0x79, v8
	v_cmp_gt_u32_e32 vcc, s21, v8
	v_cndmask_b32_e32 v13, 0, v13, vcc
	v_cmp_eq_u32_e32 vcc, 0, v8
	v_cndmask_b32_e32 v13, v13, v11, vcc
	v_add_u32_e32 v9, 0xffffff81, v8
	v_or_b32_e32 v14, 0x800000, v4
	v_add_u32_e32 v8, 20, v13
	v_cndmask_b32_e32 v15, v9, v10, vcc
	v_cndmask_b32_e32 v4, v14, v4, vcc
	v_lshlrev_b64 v[8:9], v8, -1
	v_not_b32_e32 v8, v8
	v_lshrrev_b64 v[18:19], v13, v[4:5]
	v_not_b32_e32 v9, v9
	v_and_b32_e32 v8, v4, v8
	v_add_u32_e32 v14, 19, v13
	v_lshrrev_b32_e32 v4, 23, v18
	v_and_b32_e32 v9, 0, v9
	v_lshlrev_b64 v[16:17], v14, 1
	v_add3_u32 v14, v13, v15, v4
	v_bfe_u32 v4, v18, 20, 1
	v_add_u32_e32 v4, -1, v4
	v_cmp_eq_u64_e32 vcc, v[8:9], v[16:17]
	v_cndmask_b32_e32 v4, 0, v4, vcc
	v_add_u32_e32 v4, v4, v18
	v_and_b32_e32 v4, 0xfffff, v4
	v_add_co_u32_e32 v8, vcc, v4, v18
	v_add_u32_e32 v13, 6, v14
	v_addc_co_u32_e32 v9, vcc, 0, v19, vcc
	v_cmp_ne_u32_e32 vcc, 0, v13
                                        ; implicit-def: $vgpr4
	s_and_saveexec_b64 s[0:1], vcc
	s_xor_b64 s[0:1], exec, s[0:1]
; %bb.390:                              ;   in Loop: Header=BB17_386 Depth=1
	v_add_u32_e32 v4, 7, v14
	v_cmp_lt_u64_e32 vcc, s[8:9], v[8:9]
	v_cndmask_b32_e32 v4, v13, v4, vcc
	v_cndmask_b32_e64 v13, 0, 1, vcc
	v_lshrrev_b64 v[8:9], v13, v[8:9]
; %bb.391:                              ;   in Loop: Header=BB17_386 Depth=1
	s_andn2_saveexec_b64 s[0:1], s[0:1]
; %bb.392:                              ;   in Loop: Header=BB17_386 Depth=1
	v_bfe_u32 v4, v8, 23, 1
; %bb.393:                              ;   in Loop: Header=BB17_386 Depth=1
	s_or_b64 exec, exec, s[0:1]
	v_lshrrev_b64 v[8:9], 20, v[8:9]
	v_cmp_gt_i32_e32 vcc, 16, v4
	v_cndmask_b32_e32 v9, 0, v9, vcc
	v_cndmask_b32_e32 v8, 7, v8, vcc
	v_cmp_ne_u32_e32 vcc, 0, v4
	v_cmp_ne_u64_e64 s[0:1], 0, v[8:9]
	s_or_b64 s[0:1], vcc, s[0:1]
                                        ; implicit-def: $vgpr9
	s_and_saveexec_b64 s[28:29], s[0:1]
	s_xor_b64 s[0:1], exec, s[28:29]
; %bb.394:                              ;   in Loop: Header=BB17_386 Depth=1
	v_min_i32_e32 v4, 15, v4
	v_lshl_or_b32 v4, v4, 3, v12
	v_and_or_b32 v9, v8, 7, v4
                                        ; implicit-def: $vgpr12
; %bb.395:                              ;   in Loop: Header=BB17_386 Depth=1
	s_andn2_saveexec_b64 s[0:1], s[0:1]
; %bb.396:                              ;   in Loop: Header=BB17_386 Depth=1
	v_mov_b32_e32 v9, v12
; %bb.397:                              ;   in Loop: Header=BB17_386 Depth=1
	s_or_b64 exec, exec, s[0:1]
.LBB17_398:                             ;   in Loop: Header=BB17_386 Depth=1
	s_or_b64 exec, exec, s[16:17]
.LBB17_399:                             ;   in Loop: Header=BB17_386 Depth=1
	s_andn2_saveexec_b64 s[0:1], s[14:15]
	s_or_b64 exec, exec, s[0:1]
                                        ; implicit-def: $vgpr8
.LBB17_400:                             ;   in Loop: Header=BB17_386 Depth=1
	s_andn2_saveexec_b64 s[0:1], s[12:13]
	s_cbranch_execz .LBB17_385
; %bb.401:                              ;   in Loop: Header=BB17_386 Depth=1
	v_or_b32_sdwa v8, v8, s26 dst_sel:DWORD dst_unused:UNUSED_PAD src0_sel:BYTE_3 src1_sel:DWORD
	v_cmp_eq_u64_e32 vcc, 0, v[4:5]
	v_cndmask_b32_e32 v9, v8, v9, vcc
	s_branch .LBB17_385
.LBB17_402:
	s_or_b64 exec, exec, s[22:23]
	s_mov_b64 s[0:1], 0
.LBB17_403:
	s_and_b64 vcc, exec, s[0:1]
	s_cbranch_vccz .LBB17_456
; %bb.404:
	s_ashr_i32 s20, s58, 2
	v_cmp_gt_i32_e32 vcc, s20, v0
	s_and_saveexec_b64 s[2:3], vcc
	s_cbranch_execz .LBB17_455
; %bb.405:
	s_add_u32 s0, s70, s72
	s_addc_u32 s1, s69, s71
	s_add_u32 s0, s40, s0
	v_lshlrev_b32_e32 v1, 2, v0
	s_addc_u32 s1, s41, s1
	s_lshl_b32 s22, s68, 2
	v_mov_b32_e32 v2, s1
	v_add_co_u32_e32 v6, vcc, s0, v1
	s_add_u32 s0, s36, s34
	v_addc_co_u32_e32 v7, vcc, 0, v2, vcc
	v_lshlrev_b32_e32 v1, 4, v0
	s_addc_u32 s1, s37, s35
	v_mov_b32_e32 v2, s1
	v_add_co_u32_e32 v1, vcc, s0, v1
	v_addc_co_u32_e32 v2, vcc, 0, v2, vcc
	s_mov_b32 s21, 0
	v_add_co_u32_e32 v8, vcc, 8, v1
	v_addc_co_u32_e32 v9, vcc, 0, v2, vcc
	s_lshl_b32 s23, s68, 4
	s_mov_b32 s24, s21
	s_mov_b64 s[4:5], 0
	v_mov_b32_e32 v11, 0
	s_movk_i32 s25, 0x80
	s_mov_b64 s[6:7], 0x7f800000
	s_mov_b64 s[8:9], 0x43e00001
	s_movk_i32 s26, 0x7a
	s_mov_b64 s[10:11], 0xffffff
	s_movk_i32 s27, 0x7f
	s_mov_b32 s28, 0x4020c0c
	v_mov_b32_e32 v1, 0xffffff82
	v_mov_b32_e32 v14, 0x78
	;; [unrolled: 1-line block ×3, first 2 shown]
	s_branch .LBB17_407
.LBB17_406:                             ;   in Loop: Header=BB17_407 Depth=1
	s_or_b64 exec, exec, s[0:1]
	v_lshlrev_b32_e32 v3, 16, v4
	v_perm_b32 v2, v2, v3, s28
	v_lshlrev_b32_e32 v3, 8, v13
	v_and_b32_e32 v3, 0xff00, v3
	v_and_b32_e32 v4, 0xff, v12
	v_or3_b32 v2, v2, v3, v4
	global_store_dword v[6:7], v2, off
	v_mov_b32_e32 v2, s21
	v_add_co_u32_e32 v6, vcc, s22, v6
	v_add_u32_e32 v15, s68, v15
	v_addc_co_u32_e32 v7, vcc, v7, v2, vcc
	v_cmp_le_i32_e32 vcc, s20, v15
	v_mov_b32_e32 v2, s24
	s_or_b64 s[4:5], vcc, s[4:5]
	v_add_co_u32_e32 v8, vcc, s23, v8
	v_addc_co_u32_e32 v9, vcc, v9, v2, vcc
	s_andn2_b64 exec, exec, s[4:5]
	s_cbranch_execz .LBB17_455
.LBB17_407:                             ; =>This Inner Loop Header: Depth=1
	global_load_dwordx4 v[2:5], v[8:9], off offset:-8
	v_mov_b32_e32 v17, v11
	s_waitcnt vmcnt(0)
	v_div_scale_f32 v10, s[0:1], s77, s77, v2
	v_rcp_f32_e32 v12, v10
	v_div_scale_f32 v13, vcc, v2, s77, v2
	v_fma_f32 v16, -v10, v12, 1.0
	v_fmac_f32_e32 v12, v16, v12
	v_mul_f32_e32 v16, v13, v12
	v_fma_f32 v18, -v10, v16, v13
	v_fmac_f32_e32 v16, v18, v12
	v_fma_f32 v10, -v10, v16, v13
	v_div_fmas_f32 v10, v10, v12, v16
	v_div_fixup_f32 v13, v10, s77, v2
	v_and_b32_sdwa v2, v13, s25 dst_sel:DWORD dst_unused:UNUSED_PAD src0_sel:BYTE_3 src1_sel:DWORD
	v_and_b32_e32 v16, 0x7f800000, v13
	v_and_b32_e32 v10, 0x7fffff, v13
	v_or_b32_e32 v12, 0x7e, v2
	v_cmp_ne_u64_e32 vcc, s[6:7], v[16:17]
	s_and_saveexec_b64 s[0:1], vcc
	s_xor_b64 s[12:13], exec, s[0:1]
	s_cbranch_execz .LBB17_417
; %bb.408:                              ;   in Loop: Header=BB17_407 Depth=1
	v_and_b32_e32 v16, 0x7fffffff, v13
	v_mov_b32_e32 v17, v11
	v_cmp_gt_u64_e32 vcc, s[8:9], v[16:17]
	s_and_saveexec_b64 s[14:15], vcc
	s_cbranch_execz .LBB17_416
; %bb.409:                              ;   in Loop: Header=BB17_407 Depth=1
	v_cmp_ne_u32_e32 vcc, 0, v13
	v_mov_b32_e32 v12, 0
	s_and_saveexec_b64 s[16:17], vcc
	s_cbranch_execz .LBB17_415
; %bb.410:                              ;   in Loop: Header=BB17_407 Depth=1
	v_bfe_u32 v12, v13, 23, 8
	v_sub_u32_e32 v16, 0x79, v12
	v_cmp_gt_u32_e32 vcc, s26, v12
	v_cndmask_b32_e32 v16, 0, v16, vcc
	v_cmp_eq_u32_e32 vcc, 0, v12
	v_cndmask_b32_e32 v16, v16, v14, vcc
	v_add_u32_e32 v13, 0xffffff81, v12
	v_or_b32_e32 v17, 0x800000, v10
	v_add_u32_e32 v12, 20, v16
	v_cndmask_b32_e32 v22, v13, v1, vcc
	v_cndmask_b32_e32 v10, v17, v10, vcc
	v_lshlrev_b64 v[12:13], v12, -1
	v_not_b32_e32 v12, v12
	v_lshrrev_b64 v[20:21], v16, v[10:11]
	v_not_b32_e32 v13, v13
	v_and_b32_e32 v12, v10, v12
	v_add_u32_e32 v17, 19, v16
	v_lshrrev_b32_e32 v10, 23, v20
	v_and_b32_e32 v13, 0, v13
	v_lshlrev_b64 v[18:19], v17, 1
	v_add3_u32 v17, v16, v22, v10
	v_bfe_u32 v10, v20, 20, 1
	v_add_u32_e32 v10, -1, v10
	v_cmp_eq_u64_e32 vcc, v[12:13], v[18:19]
	v_cndmask_b32_e32 v10, 0, v10, vcc
	v_add_u32_e32 v10, v10, v20
	v_and_b32_e32 v10, 0xfffff, v10
	v_add_co_u32_e32 v12, vcc, v10, v20
	v_add_u32_e32 v16, 6, v17
	v_addc_co_u32_e32 v13, vcc, 0, v21, vcc
	v_cmp_ne_u32_e32 vcc, 0, v16
                                        ; implicit-def: $vgpr10
	s_and_saveexec_b64 s[0:1], vcc
	s_xor_b64 s[0:1], exec, s[0:1]
; %bb.411:                              ;   in Loop: Header=BB17_407 Depth=1
	v_add_u32_e32 v10, 7, v17
	v_cmp_lt_u64_e32 vcc, s[10:11], v[12:13]
	v_cndmask_b32_e32 v10, v16, v10, vcc
	v_cndmask_b32_e64 v16, 0, 1, vcc
	v_lshrrev_b64 v[12:13], v16, v[12:13]
; %bb.412:                              ;   in Loop: Header=BB17_407 Depth=1
	s_andn2_saveexec_b64 s[0:1], s[0:1]
; %bb.413:                              ;   in Loop: Header=BB17_407 Depth=1
	v_bfe_u32 v10, v12, 23, 1
; %bb.414:                              ;   in Loop: Header=BB17_407 Depth=1
	s_or_b64 exec, exec, s[0:1]
	v_lshrrev_b64 v[12:13], 20, v[12:13]
	v_cmp_gt_i32_e32 vcc, 16, v10
	v_cndmask_b32_e32 v13, 0, v13, vcc
	v_cndmask_b32_e32 v12, 7, v12, vcc
	v_cmp_eq_u32_e32 vcc, 0, v10
	v_min_i32_e32 v10, 15, v10
	v_cmp_eq_u64_e64 s[0:1], 0, v[12:13]
	v_lshlrev_b32_e32 v10, 3, v10
	v_and_or_b32 v10, v12, 7, v10
	s_and_b64 s[0:1], vcc, s[0:1]
	v_cndmask_b32_e64 v10, v10, 0, s[0:1]
	v_or_b32_e32 v12, v10, v2
.LBB17_415:                             ;   in Loop: Header=BB17_407 Depth=1
	s_or_b64 exec, exec, s[16:17]
.LBB17_416:                             ;   in Loop: Header=BB17_407 Depth=1
	s_or_b64 exec, exec, s[14:15]
                                        ; implicit-def: $vgpr13
.LBB17_417:                             ;   in Loop: Header=BB17_407 Depth=1
	s_andn2_saveexec_b64 s[0:1], s[12:13]
; %bb.418:                              ;   in Loop: Header=BB17_407 Depth=1
	v_or_b32_sdwa v2, v13, s27 dst_sel:DWORD dst_unused:UNUSED_PAD src0_sel:BYTE_3 src1_sel:DWORD
	v_cmp_eq_u64_e32 vcc, 0, v[10:11]
	v_cndmask_b32_e32 v12, v2, v12, vcc
; %bb.419:                              ;   in Loop: Header=BB17_407 Depth=1
	s_or_b64 exec, exec, s[0:1]
	v_div_scale_f32 v2, s[0:1], s77, s77, v3
	v_rcp_f32_e32 v10, v2
	v_div_scale_f32 v13, vcc, v3, s77, v3
	v_mov_b32_e32 v19, v11
	v_fma_f32 v16, -v2, v10, 1.0
	v_fmac_f32_e32 v10, v16, v10
	v_mul_f32_e32 v16, v13, v10
	v_fma_f32 v17, -v2, v16, v13
	v_fmac_f32_e32 v16, v17, v10
	v_fma_f32 v2, -v2, v16, v13
	v_div_fmas_f32 v2, v2, v10, v16
	v_div_fixup_f32 v2, v2, s77, v3
	v_and_b32_sdwa v16, v2, s25 dst_sel:DWORD dst_unused:UNUSED_PAD src0_sel:BYTE_3 src1_sel:DWORD
	v_and_b32_e32 v18, 0x7f800000, v2
	v_and_b32_e32 v10, 0x7fffff, v2
	v_or_b32_e32 v13, 0x7e, v16
	v_cmp_ne_u64_e32 vcc, s[6:7], v[18:19]
	s_and_saveexec_b64 s[0:1], vcc
	s_xor_b64 s[12:13], exec, s[0:1]
	s_cbranch_execz .LBB17_429
; %bb.420:                              ;   in Loop: Header=BB17_407 Depth=1
	v_and_b32_e32 v18, 0x7fffffff, v2
	v_mov_b32_e32 v19, v11
	v_cmp_gt_u64_e32 vcc, s[8:9], v[18:19]
	s_and_saveexec_b64 s[14:15], vcc
	s_cbranch_execz .LBB17_428
; %bb.421:                              ;   in Loop: Header=BB17_407 Depth=1
	v_cmp_ne_u32_e32 vcc, 0, v2
	v_mov_b32_e32 v13, 0
	s_and_saveexec_b64 s[16:17], vcc
	s_cbranch_execz .LBB17_427
; %bb.422:                              ;   in Loop: Header=BB17_407 Depth=1
	v_bfe_u32 v2, v2, 23, 8
	v_sub_u32_e32 v13, 0x79, v2
	v_cmp_gt_u32_e32 vcc, s26, v2
	v_cndmask_b32_e32 v13, 0, v13, vcc
	v_cmp_eq_u32_e32 vcc, 0, v2
	v_cndmask_b32_e32 v13, v13, v14, vcc
	v_add_u32_e32 v3, 0xffffff81, v2
	v_or_b32_e32 v17, 0x800000, v10
	v_add_u32_e32 v2, 20, v13
	v_cndmask_b32_e32 v22, v3, v1, vcc
	v_cndmask_b32_e32 v10, v17, v10, vcc
	v_lshlrev_b64 v[2:3], v2, -1
	v_not_b32_e32 v2, v2
	v_lshrrev_b64 v[20:21], v13, v[10:11]
	v_not_b32_e32 v3, v3
	v_and_b32_e32 v2, v10, v2
	v_add_u32_e32 v17, 19, v13
	v_lshrrev_b32_e32 v10, 23, v20
	v_and_b32_e32 v3, 0, v3
	v_lshlrev_b64 v[18:19], v17, 1
	v_add3_u32 v17, v13, v22, v10
	v_bfe_u32 v10, v20, 20, 1
	v_add_u32_e32 v10, -1, v10
	v_cmp_eq_u64_e32 vcc, v[2:3], v[18:19]
	v_cndmask_b32_e32 v2, 0, v10, vcc
	v_add_u32_e32 v2, v2, v20
	v_and_b32_e32 v2, 0xfffff, v2
	v_add_co_u32_e32 v2, vcc, v2, v20
	v_add_u32_e32 v13, 6, v17
	v_addc_co_u32_e32 v3, vcc, 0, v21, vcc
	v_cmp_ne_u32_e32 vcc, 0, v13
                                        ; implicit-def: $vgpr10
	s_and_saveexec_b64 s[0:1], vcc
	s_xor_b64 s[0:1], exec, s[0:1]
; %bb.423:                              ;   in Loop: Header=BB17_407 Depth=1
	v_add_u32_e32 v10, 7, v17
	v_cmp_lt_u64_e32 vcc, s[10:11], v[2:3]
	v_cndmask_b32_e32 v10, v13, v10, vcc
	v_cndmask_b32_e64 v13, 0, 1, vcc
	v_lshrrev_b64 v[2:3], v13, v[2:3]
; %bb.424:                              ;   in Loop: Header=BB17_407 Depth=1
	s_andn2_saveexec_b64 s[0:1], s[0:1]
; %bb.425:                              ;   in Loop: Header=BB17_407 Depth=1
	v_bfe_u32 v10, v2, 23, 1
; %bb.426:                              ;   in Loop: Header=BB17_407 Depth=1
	s_or_b64 exec, exec, s[0:1]
	v_lshrrev_b64 v[2:3], 20, v[2:3]
	v_cmp_gt_i32_e32 vcc, 16, v10
	v_cndmask_b32_e32 v3, 0, v3, vcc
	v_cndmask_b32_e32 v2, 7, v2, vcc
	v_cmp_eq_u64_e64 s[0:1], 0, v[2:3]
	v_min_i32_e32 v3, 15, v10
	v_cmp_eq_u32_e32 vcc, 0, v10
	v_lshlrev_b32_e32 v3, 3, v3
	v_and_or_b32 v2, v2, 7, v3
	s_and_b64 s[0:1], vcc, s[0:1]
	v_cndmask_b32_e64 v2, v2, 0, s[0:1]
	v_or_b32_e32 v13, v2, v16
.LBB17_427:                             ;   in Loop: Header=BB17_407 Depth=1
	s_or_b64 exec, exec, s[16:17]
.LBB17_428:                             ;   in Loop: Header=BB17_407 Depth=1
	s_or_b64 exec, exec, s[14:15]
                                        ; implicit-def: $vgpr2
.LBB17_429:                             ;   in Loop: Header=BB17_407 Depth=1
	s_andn2_saveexec_b64 s[0:1], s[12:13]
; %bb.430:                              ;   in Loop: Header=BB17_407 Depth=1
	v_or_b32_sdwa v2, v2, s27 dst_sel:DWORD dst_unused:UNUSED_PAD src0_sel:BYTE_3 src1_sel:DWORD
	v_cmp_eq_u64_e32 vcc, 0, v[10:11]
	v_cndmask_b32_e32 v13, v2, v13, vcc
; %bb.431:                              ;   in Loop: Header=BB17_407 Depth=1
	s_or_b64 exec, exec, s[0:1]
	v_div_scale_f32 v2, s[0:1], s77, s77, v4
	v_rcp_f32_e32 v3, v2
	v_div_scale_f32 v10, vcc, v4, s77, v4
	v_mov_b32_e32 v19, v11
	v_fma_f32 v16, -v2, v3, 1.0
	v_fmac_f32_e32 v3, v16, v3
	v_mul_f32_e32 v16, v10, v3
	v_fma_f32 v17, -v2, v16, v10
	v_fmac_f32_e32 v16, v17, v3
	v_fma_f32 v2, -v2, v16, v10
	v_div_fmas_f32 v2, v2, v3, v16
	v_div_fixup_f32 v2, v2, s77, v4
	v_and_b32_sdwa v16, v2, s25 dst_sel:DWORD dst_unused:UNUSED_PAD src0_sel:BYTE_3 src1_sel:DWORD
	v_and_b32_e32 v18, 0x7f800000, v2
	v_and_b32_e32 v10, 0x7fffff, v2
	v_or_b32_e32 v4, 0x7e, v16
	v_cmp_ne_u64_e32 vcc, s[6:7], v[18:19]
	s_and_saveexec_b64 s[0:1], vcc
	s_xor_b64 s[12:13], exec, s[0:1]
	s_cbranch_execz .LBB17_441
; %bb.432:                              ;   in Loop: Header=BB17_407 Depth=1
	v_and_b32_e32 v18, 0x7fffffff, v2
	v_mov_b32_e32 v19, v11
	v_cmp_gt_u64_e32 vcc, s[8:9], v[18:19]
	s_and_saveexec_b64 s[14:15], vcc
	s_cbranch_execz .LBB17_440
; %bb.433:                              ;   in Loop: Header=BB17_407 Depth=1
	v_cmp_ne_u32_e32 vcc, 0, v2
	v_mov_b32_e32 v4, 0
	s_and_saveexec_b64 s[16:17], vcc
	s_cbranch_execz .LBB17_439
; %bb.434:                              ;   in Loop: Header=BB17_407 Depth=1
	v_bfe_u32 v2, v2, 23, 8
	v_sub_u32_e32 v4, 0x79, v2
	v_cmp_gt_u32_e32 vcc, s26, v2
	v_cndmask_b32_e32 v4, 0, v4, vcc
	v_cmp_eq_u32_e32 vcc, 0, v2
	v_cndmask_b32_e32 v4, v4, v14, vcc
	v_add_u32_e32 v3, 0xffffff81, v2
	v_or_b32_e32 v17, 0x800000, v10
	v_add_u32_e32 v2, 20, v4
	v_cndmask_b32_e32 v22, v3, v1, vcc
	v_cndmask_b32_e32 v10, v17, v10, vcc
	v_lshlrev_b64 v[2:3], v2, -1
	v_not_b32_e32 v2, v2
	v_lshrrev_b64 v[20:21], v4, v[10:11]
	v_not_b32_e32 v3, v3
	v_and_b32_e32 v2, v10, v2
	v_add_u32_e32 v17, 19, v4
	v_lshrrev_b32_e32 v10, 23, v20
	v_and_b32_e32 v3, 0, v3
	v_lshlrev_b64 v[18:19], v17, 1
	v_add3_u32 v17, v4, v22, v10
	v_bfe_u32 v4, v20, 20, 1
	v_add_u32_e32 v4, -1, v4
	v_cmp_eq_u64_e32 vcc, v[2:3], v[18:19]
	v_cndmask_b32_e32 v2, 0, v4, vcc
	v_add_u32_e32 v2, v2, v20
	v_and_b32_e32 v2, 0xfffff, v2
	v_add_co_u32_e32 v2, vcc, v2, v20
	v_add_u32_e32 v10, 6, v17
	v_addc_co_u32_e32 v3, vcc, 0, v21, vcc
	v_cmp_ne_u32_e32 vcc, 0, v10
                                        ; implicit-def: $vgpr4
	s_and_saveexec_b64 s[0:1], vcc
	s_xor_b64 s[0:1], exec, s[0:1]
; %bb.435:                              ;   in Loop: Header=BB17_407 Depth=1
	v_add_u32_e32 v4, 7, v17
	v_cmp_lt_u64_e32 vcc, s[10:11], v[2:3]
	v_cndmask_b32_e32 v4, v10, v4, vcc
	v_cndmask_b32_e64 v10, 0, 1, vcc
	v_lshrrev_b64 v[2:3], v10, v[2:3]
; %bb.436:                              ;   in Loop: Header=BB17_407 Depth=1
	s_andn2_saveexec_b64 s[0:1], s[0:1]
; %bb.437:                              ;   in Loop: Header=BB17_407 Depth=1
	v_bfe_u32 v4, v2, 23, 1
; %bb.438:                              ;   in Loop: Header=BB17_407 Depth=1
	s_or_b64 exec, exec, s[0:1]
	v_lshrrev_b64 v[2:3], 20, v[2:3]
	v_cmp_gt_i32_e32 vcc, 16, v4
	v_cndmask_b32_e32 v3, 0, v3, vcc
	v_cndmask_b32_e32 v2, 7, v2, vcc
	v_cmp_eq_u64_e64 s[0:1], 0, v[2:3]
	v_min_i32_e32 v3, 15, v4
	v_cmp_eq_u32_e32 vcc, 0, v4
	v_lshlrev_b32_e32 v3, 3, v3
	v_and_or_b32 v2, v2, 7, v3
	s_and_b64 s[0:1], vcc, s[0:1]
	v_cndmask_b32_e64 v2, v2, 0, s[0:1]
	v_or_b32_e32 v4, v2, v16
.LBB17_439:                             ;   in Loop: Header=BB17_407 Depth=1
	s_or_b64 exec, exec, s[16:17]
.LBB17_440:                             ;   in Loop: Header=BB17_407 Depth=1
	s_or_b64 exec, exec, s[14:15]
                                        ; implicit-def: $vgpr2
.LBB17_441:                             ;   in Loop: Header=BB17_407 Depth=1
	s_andn2_saveexec_b64 s[0:1], s[12:13]
; %bb.442:                              ;   in Loop: Header=BB17_407 Depth=1
	v_or_b32_sdwa v2, v2, s27 dst_sel:DWORD dst_unused:UNUSED_PAD src0_sel:BYTE_3 src1_sel:DWORD
	v_cmp_eq_u64_e32 vcc, 0, v[10:11]
	v_cndmask_b32_e32 v4, v2, v4, vcc
; %bb.443:                              ;   in Loop: Header=BB17_407 Depth=1
	s_or_b64 exec, exec, s[0:1]
	v_div_scale_f32 v2, s[0:1], s77, s77, v5
	v_rcp_f32_e32 v3, v2
	v_div_scale_f32 v10, vcc, v5, s77, v5
	v_fma_f32 v16, -v2, v3, 1.0
	v_fmac_f32_e32 v3, v16, v3
	v_mul_f32_e32 v16, v10, v3
	v_fma_f32 v17, -v2, v16, v10
	v_fmac_f32_e32 v16, v17, v3
	v_fma_f32 v2, -v2, v16, v10
	v_div_fmas_f32 v2, v2, v3, v16
	v_div_fixup_f32 v3, v2, s77, v5
	v_and_b32_sdwa v5, v3, s25 dst_sel:DWORD dst_unused:UNUSED_PAD src0_sel:BYTE_3 src1_sel:DWORD
	v_and_b32_e32 v16, 0x7f800000, v3
	v_mov_b32_e32 v17, v11
	v_and_b32_e32 v10, 0x7fffff, v3
	v_or_b32_e32 v2, 0x7e, v5
	v_cmp_ne_u64_e32 vcc, s[6:7], v[16:17]
	s_and_saveexec_b64 s[0:1], vcc
	s_xor_b64 s[12:13], exec, s[0:1]
	s_cbranch_execz .LBB17_453
; %bb.444:                              ;   in Loop: Header=BB17_407 Depth=1
	v_and_b32_e32 v16, 0x7fffffff, v3
	v_mov_b32_e32 v17, v11
	v_cmp_gt_u64_e32 vcc, s[8:9], v[16:17]
	s_and_saveexec_b64 s[14:15], vcc
	s_cbranch_execz .LBB17_452
; %bb.445:                              ;   in Loop: Header=BB17_407 Depth=1
	v_cmp_ne_u32_e32 vcc, 0, v3
	v_mov_b32_e32 v2, 0
	s_and_saveexec_b64 s[16:17], vcc
	s_cbranch_execz .LBB17_451
; %bb.446:                              ;   in Loop: Header=BB17_407 Depth=1
	v_bfe_u32 v2, v3, 23, 8
	v_sub_u32_e32 v16, 0x79, v2
	v_cmp_gt_u32_e32 vcc, s26, v2
	v_cndmask_b32_e32 v16, 0, v16, vcc
	v_cmp_eq_u32_e32 vcc, 0, v2
	v_cndmask_b32_e32 v16, v16, v14, vcc
	v_add_u32_e32 v3, 0xffffff81, v2
	v_or_b32_e32 v17, 0x800000, v10
	v_add_u32_e32 v2, 20, v16
	v_cndmask_b32_e32 v22, v3, v1, vcc
	v_cndmask_b32_e32 v10, v17, v10, vcc
	v_lshlrev_b64 v[2:3], v2, -1
	v_not_b32_e32 v2, v2
	v_lshrrev_b64 v[20:21], v16, v[10:11]
	v_not_b32_e32 v3, v3
	v_and_b32_e32 v2, v10, v2
	v_add_u32_e32 v17, 19, v16
	v_lshrrev_b32_e32 v10, 23, v20
	v_and_b32_e32 v3, 0, v3
	v_lshlrev_b64 v[18:19], v17, 1
	v_add3_u32 v17, v16, v22, v10
	v_bfe_u32 v10, v20, 20, 1
	v_add_u32_e32 v10, -1, v10
	v_cmp_eq_u64_e32 vcc, v[2:3], v[18:19]
	v_cndmask_b32_e32 v2, 0, v10, vcc
	v_add_u32_e32 v2, v2, v20
	v_and_b32_e32 v2, 0xfffff, v2
	v_add_co_u32_e32 v2, vcc, v2, v20
	v_add_u32_e32 v16, 6, v17
	v_addc_co_u32_e32 v3, vcc, 0, v21, vcc
	v_cmp_ne_u32_e32 vcc, 0, v16
                                        ; implicit-def: $vgpr10
	s_and_saveexec_b64 s[0:1], vcc
	s_xor_b64 s[0:1], exec, s[0:1]
; %bb.447:                              ;   in Loop: Header=BB17_407 Depth=1
	v_add_u32_e32 v10, 7, v17
	v_cmp_lt_u64_e32 vcc, s[10:11], v[2:3]
	v_cndmask_b32_e32 v10, v16, v10, vcc
	v_cndmask_b32_e64 v16, 0, 1, vcc
	v_lshrrev_b64 v[2:3], v16, v[2:3]
; %bb.448:                              ;   in Loop: Header=BB17_407 Depth=1
	s_andn2_saveexec_b64 s[0:1], s[0:1]
; %bb.449:                              ;   in Loop: Header=BB17_407 Depth=1
	v_bfe_u32 v10, v2, 23, 1
; %bb.450:                              ;   in Loop: Header=BB17_407 Depth=1
	s_or_b64 exec, exec, s[0:1]
	v_lshrrev_b64 v[2:3], 20, v[2:3]
	v_cmp_gt_i32_e32 vcc, 16, v10
	v_cndmask_b32_e32 v3, 0, v3, vcc
	v_cndmask_b32_e32 v2, 7, v2, vcc
	v_cmp_eq_u64_e64 s[0:1], 0, v[2:3]
	v_min_i32_e32 v3, 15, v10
	v_cmp_eq_u32_e32 vcc, 0, v10
	v_lshlrev_b32_e32 v3, 3, v3
	v_and_or_b32 v2, v2, 7, v3
	s_and_b64 s[0:1], vcc, s[0:1]
	v_cndmask_b32_e64 v2, v2, 0, s[0:1]
	v_or_b32_e32 v2, v2, v5
.LBB17_451:                             ;   in Loop: Header=BB17_407 Depth=1
	s_or_b64 exec, exec, s[16:17]
.LBB17_452:                             ;   in Loop: Header=BB17_407 Depth=1
	s_or_b64 exec, exec, s[14:15]
                                        ; implicit-def: $vgpr3
.LBB17_453:                             ;   in Loop: Header=BB17_407 Depth=1
	s_andn2_saveexec_b64 s[0:1], s[12:13]
	s_cbranch_execz .LBB17_406
; %bb.454:                              ;   in Loop: Header=BB17_407 Depth=1
	v_or_b32_sdwa v3, v3, s27 dst_sel:DWORD dst_unused:UNUSED_PAD src0_sel:BYTE_3 src1_sel:DWORD
	v_cmp_eq_u64_e32 vcc, 0, v[10:11]
	v_cndmask_b32_e32 v2, v3, v2, vcc
	s_branch .LBB17_406
.LBB17_455:
	s_or_b64 exec, exec, s[2:3]
.LBB17_456:
	s_and_b32 s0, s73, 15
	s_mov_b32 s1, 0
	s_cmp_lg_u64 s[0:1], 0
	s_cselect_b64 s[2:3], -1, 0
	s_xor_b64 s[4:5], s[18:19], -1
	s_or_b64 s[2:3], s[4:5], s[2:3]
	s_mov_b64 s[0:1], -1
	s_and_b64 vcc, exec, s[2:3]
	s_cbranch_vccz .LBB17_552
; %bb.457:
	s_sub_i32 s0, 0, s73
	s_bfe_u32 s0, s0, 0x20002
	s_min_i32 s18, s0, s58
	v_cmp_gt_i32_e32 vcc, s18, v0
	s_and_saveexec_b64 s[2:3], vcc
	s_cbranch_execz .LBB17_476
; %bb.458:
	s_add_u32 s0, s38, s30
	v_mov_b32_e32 v3, 0
	v_lshlrev_b32_e32 v2, 2, v0
	s_addc_u32 s1, s39, s31
	s_mov_b32 s19, 0
	v_mov_b32_e32 v1, v3
	v_mov_b32_e32 v5, s1
	v_add_co_u32_e32 v4, vcc, s0, v2
	v_addc_co_u32_e32 v5, vcc, 0, v5, vcc
	s_lshl_b32 s20, s68, 2
	s_mov_b32 s21, s19
	s_mov_b64 s[4:5], 0
	s_movk_i32 s22, 0x80
	s_mov_b64 s[6:7], 0x7f800000
	s_mov_b64 s[8:9], 0x43e00001
	s_movk_i32 s23, 0x7a
	s_mov_b64 s[10:11], 0xffffff
	s_movk_i32 s24, 0x7f
	v_mov_b32_e32 v10, 0xffffff82
	v_mov_b32_e32 v11, 0x78
	v_pk_mov_b32 v[6:7], v[0:1], v[0:1] op_sel:[0,1]
	s_branch .LBB17_460
.LBB17_459:                             ;   in Loop: Header=BB17_460 Depth=1
	s_or_b64 exec, exec, s[0:1]
	v_mov_b32_e32 v1, s76
	v_add_co_u32_e32 v12, vcc, s75, v6
	v_addc_co_u32_e32 v13, vcc, v1, v7, vcc
	v_mov_b32_e32 v1, s19
	v_add_co_u32_e32 v6, vcc, s68, v6
	v_addc_co_u32_e32 v7, vcc, v7, v1, vcc
	v_cmp_le_i32_e32 vcc, s18, v6
	v_mov_b32_e32 v1, s21
	s_or_b64 s[4:5], vcc, s[4:5]
	v_add_co_u32_e32 v4, vcc, s20, v4
	v_addc_co_u32_e32 v5, vcc, v5, v1, vcc
	global_store_byte v[12:13], v9, off
	s_andn2_b64 exec, exec, s[4:5]
	s_cbranch_execz .LBB17_476
.LBB17_460:                             ; =>This Inner Loop Header: Depth=1
	global_load_dword v1, v[4:5], off
	v_mov_b32_e32 v13, v3
	s_waitcnt vmcnt(0)
	v_div_scale_f32 v2, s[0:1], s33, s33, v1
	v_rcp_f32_e32 v8, v2
	v_div_scale_f32 v9, vcc, v1, s33, v1
	v_fma_f32 v12, -v2, v8, 1.0
	v_fmac_f32_e32 v8, v12, v8
	v_mul_f32_e32 v12, v9, v8
	v_fma_f32 v14, -v2, v12, v9
	v_fmac_f32_e32 v12, v14, v8
	v_fma_f32 v2, -v2, v12, v9
	v_div_fmas_f32 v2, v2, v8, v12
	v_div_fixup_f32 v8, v2, s33, v1
	v_and_b32_sdwa v1, v8, s22 dst_sel:DWORD dst_unused:UNUSED_PAD src0_sel:BYTE_3 src1_sel:DWORD
	v_and_b32_e32 v12, 0x7f800000, v8
	v_and_b32_e32 v2, 0x7fffff, v8
	v_or_b32_e32 v9, 0x7e, v1
	v_cmp_ne_u64_e32 vcc, s[6:7], v[12:13]
	s_and_saveexec_b64 s[0:1], vcc
	s_xor_b64 s[12:13], exec, s[0:1]
	s_cbranch_execz .LBB17_474
; %bb.461:                              ;   in Loop: Header=BB17_460 Depth=1
	v_and_b32_e32 v12, 0x7fffffff, v8
	v_mov_b32_e32 v13, v3
	v_cmp_gt_u64_e32 vcc, s[8:9], v[12:13]
	s_and_saveexec_b64 s[0:1], vcc
	s_xor_b64 s[14:15], exec, s[0:1]
	s_cbranch_execz .LBB17_473
; %bb.462:                              ;   in Loop: Header=BB17_460 Depth=1
	v_cmp_ne_u32_e32 vcc, 0, v8
	v_mov_b32_e32 v9, 0
	s_and_saveexec_b64 s[16:17], vcc
	s_cbranch_execz .LBB17_472
; %bb.463:                              ;   in Loop: Header=BB17_460 Depth=1
	v_bfe_u32 v8, v8, 23, 8
	v_sub_u32_e32 v12, 0x79, v8
	v_cmp_gt_u32_e32 vcc, s23, v8
	v_cndmask_b32_e32 v12, 0, v12, vcc
	v_cmp_eq_u32_e32 vcc, 0, v8
	v_cndmask_b32_e32 v12, v12, v11, vcc
	v_add_u32_e32 v9, 0xffffff81, v8
	v_or_b32_e32 v13, 0x800000, v2
	v_add_u32_e32 v8, 20, v12
	v_cndmask_b32_e32 v18, v9, v10, vcc
	v_cndmask_b32_e32 v2, v13, v2, vcc
	v_lshlrev_b64 v[8:9], v8, -1
	v_not_b32_e32 v8, v8
	v_lshrrev_b64 v[16:17], v12, v[2:3]
	v_not_b32_e32 v9, v9
	v_and_b32_e32 v8, v2, v8
	v_add_u32_e32 v13, 19, v12
	v_lshrrev_b32_e32 v2, 23, v16
	v_and_b32_e32 v9, 0, v9
	v_lshlrev_b64 v[14:15], v13, 1
	v_add3_u32 v13, v12, v18, v2
	v_bfe_u32 v2, v16, 20, 1
	v_add_u32_e32 v2, -1, v2
	v_cmp_eq_u64_e32 vcc, v[8:9], v[14:15]
	v_cndmask_b32_e32 v2, 0, v2, vcc
	v_add_u32_e32 v2, v2, v16
	v_and_b32_e32 v2, 0xfffff, v2
	v_add_co_u32_e32 v8, vcc, v2, v16
	v_add_u32_e32 v12, 6, v13
	v_addc_co_u32_e32 v9, vcc, 0, v17, vcc
	v_cmp_ne_u32_e32 vcc, 0, v12
                                        ; implicit-def: $vgpr2
	s_and_saveexec_b64 s[0:1], vcc
	s_xor_b64 s[0:1], exec, s[0:1]
; %bb.464:                              ;   in Loop: Header=BB17_460 Depth=1
	v_add_u32_e32 v2, 7, v13
	v_cmp_lt_u64_e32 vcc, s[10:11], v[8:9]
	v_cndmask_b32_e32 v2, v12, v2, vcc
	v_cndmask_b32_e64 v12, 0, 1, vcc
	v_lshrrev_b64 v[8:9], v12, v[8:9]
; %bb.465:                              ;   in Loop: Header=BB17_460 Depth=1
	s_andn2_saveexec_b64 s[0:1], s[0:1]
; %bb.466:                              ;   in Loop: Header=BB17_460 Depth=1
	v_bfe_u32 v2, v8, 23, 1
; %bb.467:                              ;   in Loop: Header=BB17_460 Depth=1
	s_or_b64 exec, exec, s[0:1]
	v_lshrrev_b64 v[8:9], 20, v[8:9]
	v_cmp_gt_i32_e32 vcc, 16, v2
	v_cndmask_b32_e32 v9, 0, v9, vcc
	v_cndmask_b32_e32 v8, 7, v8, vcc
	v_cmp_ne_u32_e32 vcc, 0, v2
	v_cmp_ne_u64_e64 s[0:1], 0, v[8:9]
	s_or_b64 s[0:1], vcc, s[0:1]
                                        ; implicit-def: $vgpr9
	s_and_saveexec_b64 s[26:27], s[0:1]
	s_xor_b64 s[0:1], exec, s[26:27]
; %bb.468:                              ;   in Loop: Header=BB17_460 Depth=1
	v_min_i32_e32 v2, 15, v2
	v_lshl_or_b32 v1, v2, 3, v1
	v_and_or_b32 v9, v8, 7, v1
                                        ; implicit-def: $vgpr1
; %bb.469:                              ;   in Loop: Header=BB17_460 Depth=1
	s_andn2_saveexec_b64 s[0:1], s[0:1]
; %bb.470:                              ;   in Loop: Header=BB17_460 Depth=1
	v_mov_b32_e32 v9, v1
; %bb.471:                              ;   in Loop: Header=BB17_460 Depth=1
	s_or_b64 exec, exec, s[0:1]
.LBB17_472:                             ;   in Loop: Header=BB17_460 Depth=1
	s_or_b64 exec, exec, s[16:17]
.LBB17_473:                             ;   in Loop: Header=BB17_460 Depth=1
	s_andn2_saveexec_b64 s[0:1], s[14:15]
	s_or_b64 exec, exec, s[0:1]
                                        ; implicit-def: $vgpr8
.LBB17_474:                             ;   in Loop: Header=BB17_460 Depth=1
	s_andn2_saveexec_b64 s[0:1], s[12:13]
	s_cbranch_execz .LBB17_459
; %bb.475:                              ;   in Loop: Header=BB17_460 Depth=1
	v_or_b32_sdwa v1, v8, s24 dst_sel:DWORD dst_unused:UNUSED_PAD src0_sel:BYTE_3 src1_sel:DWORD
	v_cmp_eq_u64_e32 vcc, 0, v[2:3]
	v_cndmask_b32_e32 v9, v1, v9, vcc
	s_branch .LBB17_459
.LBB17_476:
	s_or_b64 exec, exec, s[2:3]
	s_sub_i32 s50, s58, s18
	s_ashr_i32 s0, s50, 31
	s_lshr_b32 s0, s0, 30
	s_add_i32 s0, s50, s0
	s_ashr_i32 s20, s0, 2
	s_ashr_i32 s19, s18, 31
	v_cmp_gt_i32_e32 vcc, s20, v0
	s_and_saveexec_b64 s[2:3], vcc
	s_cbranch_execz .LBB17_527
; %bb.477:
	s_add_u32 s0, s18, s70
	s_addc_u32 s1, s19, s69
	s_add_u32 s0, s0, s72
	s_addc_u32 s1, s1, s71
	s_add_u32 s0, s42, s0
	v_lshlrev_b32_e32 v1, 2, v0
	s_addc_u32 s1, s43, s1
	v_mov_b32_e32 v2, s1
	v_add_co_u32_e32 v6, vcc, s0, v1
	s_lshl_b32 s22, s68, 2
	s_lshl_b64 s[0:1], s[18:19], 2
	s_add_u32 s0, s38, s0
	s_addc_u32 s1, s39, s1
	s_add_u32 s0, s0, s30
	v_addc_co_u32_e32 v7, vcc, 0, v2, vcc
	v_lshlrev_b32_e32 v1, 4, v0
	s_addc_u32 s1, s1, s31
	v_mov_b32_e32 v2, s1
	v_add_co_u32_e32 v1, vcc, s0, v1
	v_addc_co_u32_e32 v2, vcc, 0, v2, vcc
	s_mov_b32 s21, 0
	v_add_co_u32_e32 v8, vcc, 8, v1
	v_addc_co_u32_e32 v9, vcc, 0, v2, vcc
	s_lshl_b32 s23, s68, 4
	s_mov_b32 s24, s21
	s_mov_b64 s[4:5], 0
	v_mov_b32_e32 v11, 0
	s_movk_i32 s25, 0x80
	s_mov_b64 s[6:7], 0x7f800000
	s_mov_b64 s[8:9], 0x43e00001
	s_movk_i32 s26, 0x7a
	s_mov_b64 s[10:11], 0xffffff
	s_movk_i32 s27, 0x7f
	s_mov_b32 s28, 0x4020c0c
	v_mov_b32_e32 v1, 0xffffff82
	v_mov_b32_e32 v14, 0x78
	;; [unrolled: 1-line block ×3, first 2 shown]
	s_branch .LBB17_479
.LBB17_478:                             ;   in Loop: Header=BB17_479 Depth=1
	s_or_b64 exec, exec, s[0:1]
	v_lshlrev_b32_e32 v3, 16, v4
	v_perm_b32 v2, v2, v3, s28
	v_lshlrev_b32_e32 v3, 8, v13
	v_and_b32_e32 v3, 0xff00, v3
	v_and_b32_e32 v4, 0xff, v12
	v_or3_b32 v2, v2, v3, v4
	global_store_dword v[6:7], v2, off
	v_mov_b32_e32 v2, s21
	v_add_co_u32_e32 v6, vcc, s22, v6
	v_add_u32_e32 v15, s68, v15
	v_addc_co_u32_e32 v7, vcc, v7, v2, vcc
	v_cmp_le_i32_e32 vcc, s20, v15
	v_mov_b32_e32 v2, s24
	s_or_b64 s[4:5], vcc, s[4:5]
	v_add_co_u32_e32 v8, vcc, s23, v8
	v_addc_co_u32_e32 v9, vcc, v9, v2, vcc
	s_andn2_b64 exec, exec, s[4:5]
	s_cbranch_execz .LBB17_527
.LBB17_479:                             ; =>This Inner Loop Header: Depth=1
	global_load_dwordx4 v[2:5], v[8:9], off offset:-8
	v_mov_b32_e32 v17, v11
	s_waitcnt vmcnt(0)
	v_div_scale_f32 v10, s[0:1], s33, s33, v2
	v_rcp_f32_e32 v12, v10
	v_div_scale_f32 v13, vcc, v2, s33, v2
	v_fma_f32 v16, -v10, v12, 1.0
	v_fmac_f32_e32 v12, v16, v12
	v_mul_f32_e32 v16, v13, v12
	v_fma_f32 v18, -v10, v16, v13
	v_fmac_f32_e32 v16, v18, v12
	v_fma_f32 v10, -v10, v16, v13
	v_div_fmas_f32 v10, v10, v12, v16
	v_div_fixup_f32 v13, v10, s33, v2
	v_and_b32_sdwa v2, v13, s25 dst_sel:DWORD dst_unused:UNUSED_PAD src0_sel:BYTE_3 src1_sel:DWORD
	v_and_b32_e32 v16, 0x7f800000, v13
	v_and_b32_e32 v10, 0x7fffff, v13
	v_or_b32_e32 v12, 0x7e, v2
	v_cmp_ne_u64_e32 vcc, s[6:7], v[16:17]
	s_and_saveexec_b64 s[0:1], vcc
	s_xor_b64 s[12:13], exec, s[0:1]
	s_cbranch_execz .LBB17_489
; %bb.480:                              ;   in Loop: Header=BB17_479 Depth=1
	v_and_b32_e32 v16, 0x7fffffff, v13
	v_mov_b32_e32 v17, v11
	v_cmp_gt_u64_e32 vcc, s[8:9], v[16:17]
	s_and_saveexec_b64 s[14:15], vcc
	s_cbranch_execz .LBB17_488
; %bb.481:                              ;   in Loop: Header=BB17_479 Depth=1
	v_cmp_ne_u32_e32 vcc, 0, v13
	v_mov_b32_e32 v12, 0
	s_and_saveexec_b64 s[16:17], vcc
	s_cbranch_execz .LBB17_487
; %bb.482:                              ;   in Loop: Header=BB17_479 Depth=1
	v_bfe_u32 v12, v13, 23, 8
	v_sub_u32_e32 v16, 0x79, v12
	v_cmp_gt_u32_e32 vcc, s26, v12
	v_cndmask_b32_e32 v16, 0, v16, vcc
	v_cmp_eq_u32_e32 vcc, 0, v12
	v_cndmask_b32_e32 v16, v16, v14, vcc
	v_add_u32_e32 v13, 0xffffff81, v12
	v_or_b32_e32 v17, 0x800000, v10
	v_add_u32_e32 v12, 20, v16
	v_cndmask_b32_e32 v22, v13, v1, vcc
	v_cndmask_b32_e32 v10, v17, v10, vcc
	v_lshlrev_b64 v[12:13], v12, -1
	v_not_b32_e32 v12, v12
	v_lshrrev_b64 v[20:21], v16, v[10:11]
	v_not_b32_e32 v13, v13
	v_and_b32_e32 v12, v10, v12
	v_add_u32_e32 v17, 19, v16
	v_lshrrev_b32_e32 v10, 23, v20
	v_and_b32_e32 v13, 0, v13
	v_lshlrev_b64 v[18:19], v17, 1
	v_add3_u32 v17, v16, v22, v10
	v_bfe_u32 v10, v20, 20, 1
	v_add_u32_e32 v10, -1, v10
	v_cmp_eq_u64_e32 vcc, v[12:13], v[18:19]
	v_cndmask_b32_e32 v10, 0, v10, vcc
	v_add_u32_e32 v10, v10, v20
	v_and_b32_e32 v10, 0xfffff, v10
	v_add_co_u32_e32 v12, vcc, v10, v20
	v_add_u32_e32 v16, 6, v17
	v_addc_co_u32_e32 v13, vcc, 0, v21, vcc
	v_cmp_ne_u32_e32 vcc, 0, v16
                                        ; implicit-def: $vgpr10
	s_and_saveexec_b64 s[0:1], vcc
	s_xor_b64 s[0:1], exec, s[0:1]
; %bb.483:                              ;   in Loop: Header=BB17_479 Depth=1
	v_add_u32_e32 v10, 7, v17
	v_cmp_lt_u64_e32 vcc, s[10:11], v[12:13]
	v_cndmask_b32_e32 v10, v16, v10, vcc
	v_cndmask_b32_e64 v16, 0, 1, vcc
	v_lshrrev_b64 v[12:13], v16, v[12:13]
; %bb.484:                              ;   in Loop: Header=BB17_479 Depth=1
	s_andn2_saveexec_b64 s[0:1], s[0:1]
; %bb.485:                              ;   in Loop: Header=BB17_479 Depth=1
	v_bfe_u32 v10, v12, 23, 1
; %bb.486:                              ;   in Loop: Header=BB17_479 Depth=1
	s_or_b64 exec, exec, s[0:1]
	v_lshrrev_b64 v[12:13], 20, v[12:13]
	v_cmp_gt_i32_e32 vcc, 16, v10
	v_cndmask_b32_e32 v13, 0, v13, vcc
	v_cndmask_b32_e32 v12, 7, v12, vcc
	v_cmp_eq_u32_e32 vcc, 0, v10
	v_min_i32_e32 v10, 15, v10
	v_cmp_eq_u64_e64 s[0:1], 0, v[12:13]
	v_lshlrev_b32_e32 v10, 3, v10
	v_and_or_b32 v10, v12, 7, v10
	s_and_b64 s[0:1], vcc, s[0:1]
	v_cndmask_b32_e64 v10, v10, 0, s[0:1]
	v_or_b32_e32 v12, v10, v2
.LBB17_487:                             ;   in Loop: Header=BB17_479 Depth=1
	s_or_b64 exec, exec, s[16:17]
.LBB17_488:                             ;   in Loop: Header=BB17_479 Depth=1
	s_or_b64 exec, exec, s[14:15]
                                        ; implicit-def: $vgpr13
.LBB17_489:                             ;   in Loop: Header=BB17_479 Depth=1
	s_andn2_saveexec_b64 s[0:1], s[12:13]
; %bb.490:                              ;   in Loop: Header=BB17_479 Depth=1
	v_or_b32_sdwa v2, v13, s27 dst_sel:DWORD dst_unused:UNUSED_PAD src0_sel:BYTE_3 src1_sel:DWORD
	v_cmp_eq_u64_e32 vcc, 0, v[10:11]
	v_cndmask_b32_e32 v12, v2, v12, vcc
; %bb.491:                              ;   in Loop: Header=BB17_479 Depth=1
	s_or_b64 exec, exec, s[0:1]
	v_div_scale_f32 v2, s[0:1], s33, s33, v3
	v_rcp_f32_e32 v10, v2
	v_div_scale_f32 v13, vcc, v3, s33, v3
	v_mov_b32_e32 v19, v11
	v_fma_f32 v16, -v2, v10, 1.0
	v_fmac_f32_e32 v10, v16, v10
	v_mul_f32_e32 v16, v13, v10
	v_fma_f32 v17, -v2, v16, v13
	v_fmac_f32_e32 v16, v17, v10
	v_fma_f32 v2, -v2, v16, v13
	v_div_fmas_f32 v2, v2, v10, v16
	v_div_fixup_f32 v2, v2, s33, v3
	v_and_b32_sdwa v16, v2, s25 dst_sel:DWORD dst_unused:UNUSED_PAD src0_sel:BYTE_3 src1_sel:DWORD
	v_and_b32_e32 v18, 0x7f800000, v2
	v_and_b32_e32 v10, 0x7fffff, v2
	v_or_b32_e32 v13, 0x7e, v16
	v_cmp_ne_u64_e32 vcc, s[6:7], v[18:19]
	s_and_saveexec_b64 s[0:1], vcc
	s_xor_b64 s[12:13], exec, s[0:1]
	s_cbranch_execz .LBB17_501
; %bb.492:                              ;   in Loop: Header=BB17_479 Depth=1
	v_and_b32_e32 v18, 0x7fffffff, v2
	v_mov_b32_e32 v19, v11
	v_cmp_gt_u64_e32 vcc, s[8:9], v[18:19]
	s_and_saveexec_b64 s[14:15], vcc
	s_cbranch_execz .LBB17_500
; %bb.493:                              ;   in Loop: Header=BB17_479 Depth=1
	v_cmp_ne_u32_e32 vcc, 0, v2
	v_mov_b32_e32 v13, 0
	s_and_saveexec_b64 s[16:17], vcc
	s_cbranch_execz .LBB17_499
; %bb.494:                              ;   in Loop: Header=BB17_479 Depth=1
	v_bfe_u32 v2, v2, 23, 8
	v_sub_u32_e32 v13, 0x79, v2
	v_cmp_gt_u32_e32 vcc, s26, v2
	v_cndmask_b32_e32 v13, 0, v13, vcc
	v_cmp_eq_u32_e32 vcc, 0, v2
	v_cndmask_b32_e32 v13, v13, v14, vcc
	v_add_u32_e32 v3, 0xffffff81, v2
	v_or_b32_e32 v17, 0x800000, v10
	v_add_u32_e32 v2, 20, v13
	v_cndmask_b32_e32 v22, v3, v1, vcc
	v_cndmask_b32_e32 v10, v17, v10, vcc
	v_lshlrev_b64 v[2:3], v2, -1
	v_not_b32_e32 v2, v2
	v_lshrrev_b64 v[20:21], v13, v[10:11]
	v_not_b32_e32 v3, v3
	v_and_b32_e32 v2, v10, v2
	v_add_u32_e32 v17, 19, v13
	v_lshrrev_b32_e32 v10, 23, v20
	v_and_b32_e32 v3, 0, v3
	v_lshlrev_b64 v[18:19], v17, 1
	v_add3_u32 v17, v13, v22, v10
	v_bfe_u32 v10, v20, 20, 1
	v_add_u32_e32 v10, -1, v10
	v_cmp_eq_u64_e32 vcc, v[2:3], v[18:19]
	v_cndmask_b32_e32 v2, 0, v10, vcc
	v_add_u32_e32 v2, v2, v20
	v_and_b32_e32 v2, 0xfffff, v2
	v_add_co_u32_e32 v2, vcc, v2, v20
	v_add_u32_e32 v13, 6, v17
	v_addc_co_u32_e32 v3, vcc, 0, v21, vcc
	v_cmp_ne_u32_e32 vcc, 0, v13
                                        ; implicit-def: $vgpr10
	s_and_saveexec_b64 s[0:1], vcc
	s_xor_b64 s[0:1], exec, s[0:1]
; %bb.495:                              ;   in Loop: Header=BB17_479 Depth=1
	v_add_u32_e32 v10, 7, v17
	v_cmp_lt_u64_e32 vcc, s[10:11], v[2:3]
	v_cndmask_b32_e32 v10, v13, v10, vcc
	v_cndmask_b32_e64 v13, 0, 1, vcc
	v_lshrrev_b64 v[2:3], v13, v[2:3]
; %bb.496:                              ;   in Loop: Header=BB17_479 Depth=1
	s_andn2_saveexec_b64 s[0:1], s[0:1]
; %bb.497:                              ;   in Loop: Header=BB17_479 Depth=1
	v_bfe_u32 v10, v2, 23, 1
; %bb.498:                              ;   in Loop: Header=BB17_479 Depth=1
	s_or_b64 exec, exec, s[0:1]
	v_lshrrev_b64 v[2:3], 20, v[2:3]
	v_cmp_gt_i32_e32 vcc, 16, v10
	v_cndmask_b32_e32 v3, 0, v3, vcc
	v_cndmask_b32_e32 v2, 7, v2, vcc
	v_cmp_eq_u64_e64 s[0:1], 0, v[2:3]
	v_min_i32_e32 v3, 15, v10
	v_cmp_eq_u32_e32 vcc, 0, v10
	v_lshlrev_b32_e32 v3, 3, v3
	v_and_or_b32 v2, v2, 7, v3
	s_and_b64 s[0:1], vcc, s[0:1]
	v_cndmask_b32_e64 v2, v2, 0, s[0:1]
	v_or_b32_e32 v13, v2, v16
.LBB17_499:                             ;   in Loop: Header=BB17_479 Depth=1
	s_or_b64 exec, exec, s[16:17]
.LBB17_500:                             ;   in Loop: Header=BB17_479 Depth=1
	s_or_b64 exec, exec, s[14:15]
                                        ; implicit-def: $vgpr2
.LBB17_501:                             ;   in Loop: Header=BB17_479 Depth=1
	s_andn2_saveexec_b64 s[0:1], s[12:13]
; %bb.502:                              ;   in Loop: Header=BB17_479 Depth=1
	v_or_b32_sdwa v2, v2, s27 dst_sel:DWORD dst_unused:UNUSED_PAD src0_sel:BYTE_3 src1_sel:DWORD
	v_cmp_eq_u64_e32 vcc, 0, v[10:11]
	v_cndmask_b32_e32 v13, v2, v13, vcc
; %bb.503:                              ;   in Loop: Header=BB17_479 Depth=1
	s_or_b64 exec, exec, s[0:1]
	v_div_scale_f32 v2, s[0:1], s33, s33, v4
	v_rcp_f32_e32 v3, v2
	v_div_scale_f32 v10, vcc, v4, s33, v4
	v_mov_b32_e32 v19, v11
	v_fma_f32 v16, -v2, v3, 1.0
	v_fmac_f32_e32 v3, v16, v3
	v_mul_f32_e32 v16, v10, v3
	v_fma_f32 v17, -v2, v16, v10
	v_fmac_f32_e32 v16, v17, v3
	v_fma_f32 v2, -v2, v16, v10
	v_div_fmas_f32 v2, v2, v3, v16
	v_div_fixup_f32 v2, v2, s33, v4
	v_and_b32_sdwa v16, v2, s25 dst_sel:DWORD dst_unused:UNUSED_PAD src0_sel:BYTE_3 src1_sel:DWORD
	v_and_b32_e32 v18, 0x7f800000, v2
	v_and_b32_e32 v10, 0x7fffff, v2
	v_or_b32_e32 v4, 0x7e, v16
	v_cmp_ne_u64_e32 vcc, s[6:7], v[18:19]
	s_and_saveexec_b64 s[0:1], vcc
	s_xor_b64 s[12:13], exec, s[0:1]
	s_cbranch_execz .LBB17_513
; %bb.504:                              ;   in Loop: Header=BB17_479 Depth=1
	v_and_b32_e32 v18, 0x7fffffff, v2
	v_mov_b32_e32 v19, v11
	v_cmp_gt_u64_e32 vcc, s[8:9], v[18:19]
	s_and_saveexec_b64 s[14:15], vcc
	s_cbranch_execz .LBB17_512
; %bb.505:                              ;   in Loop: Header=BB17_479 Depth=1
	v_cmp_ne_u32_e32 vcc, 0, v2
	v_mov_b32_e32 v4, 0
	s_and_saveexec_b64 s[16:17], vcc
	s_cbranch_execz .LBB17_511
; %bb.506:                              ;   in Loop: Header=BB17_479 Depth=1
	v_bfe_u32 v2, v2, 23, 8
	v_sub_u32_e32 v4, 0x79, v2
	v_cmp_gt_u32_e32 vcc, s26, v2
	v_cndmask_b32_e32 v4, 0, v4, vcc
	v_cmp_eq_u32_e32 vcc, 0, v2
	v_cndmask_b32_e32 v4, v4, v14, vcc
	v_add_u32_e32 v3, 0xffffff81, v2
	v_or_b32_e32 v17, 0x800000, v10
	v_add_u32_e32 v2, 20, v4
	v_cndmask_b32_e32 v22, v3, v1, vcc
	v_cndmask_b32_e32 v10, v17, v10, vcc
	v_lshlrev_b64 v[2:3], v2, -1
	v_not_b32_e32 v2, v2
	v_lshrrev_b64 v[20:21], v4, v[10:11]
	v_not_b32_e32 v3, v3
	v_and_b32_e32 v2, v10, v2
	v_add_u32_e32 v17, 19, v4
	v_lshrrev_b32_e32 v10, 23, v20
	v_and_b32_e32 v3, 0, v3
	v_lshlrev_b64 v[18:19], v17, 1
	v_add3_u32 v17, v4, v22, v10
	v_bfe_u32 v4, v20, 20, 1
	v_add_u32_e32 v4, -1, v4
	v_cmp_eq_u64_e32 vcc, v[2:3], v[18:19]
	v_cndmask_b32_e32 v2, 0, v4, vcc
	v_add_u32_e32 v2, v2, v20
	v_and_b32_e32 v2, 0xfffff, v2
	v_add_co_u32_e32 v2, vcc, v2, v20
	v_add_u32_e32 v10, 6, v17
	v_addc_co_u32_e32 v3, vcc, 0, v21, vcc
	v_cmp_ne_u32_e32 vcc, 0, v10
                                        ; implicit-def: $vgpr4
	s_and_saveexec_b64 s[0:1], vcc
	s_xor_b64 s[0:1], exec, s[0:1]
; %bb.507:                              ;   in Loop: Header=BB17_479 Depth=1
	v_add_u32_e32 v4, 7, v17
	v_cmp_lt_u64_e32 vcc, s[10:11], v[2:3]
	v_cndmask_b32_e32 v4, v10, v4, vcc
	v_cndmask_b32_e64 v10, 0, 1, vcc
	v_lshrrev_b64 v[2:3], v10, v[2:3]
; %bb.508:                              ;   in Loop: Header=BB17_479 Depth=1
	s_andn2_saveexec_b64 s[0:1], s[0:1]
; %bb.509:                              ;   in Loop: Header=BB17_479 Depth=1
	v_bfe_u32 v4, v2, 23, 1
; %bb.510:                              ;   in Loop: Header=BB17_479 Depth=1
	s_or_b64 exec, exec, s[0:1]
	v_lshrrev_b64 v[2:3], 20, v[2:3]
	v_cmp_gt_i32_e32 vcc, 16, v4
	v_cndmask_b32_e32 v3, 0, v3, vcc
	v_cndmask_b32_e32 v2, 7, v2, vcc
	v_cmp_eq_u64_e64 s[0:1], 0, v[2:3]
	v_min_i32_e32 v3, 15, v4
	v_cmp_eq_u32_e32 vcc, 0, v4
	v_lshlrev_b32_e32 v3, 3, v3
	v_and_or_b32 v2, v2, 7, v3
	s_and_b64 s[0:1], vcc, s[0:1]
	v_cndmask_b32_e64 v2, v2, 0, s[0:1]
	v_or_b32_e32 v4, v2, v16
.LBB17_511:                             ;   in Loop: Header=BB17_479 Depth=1
	s_or_b64 exec, exec, s[16:17]
.LBB17_512:                             ;   in Loop: Header=BB17_479 Depth=1
	s_or_b64 exec, exec, s[14:15]
                                        ; implicit-def: $vgpr2
.LBB17_513:                             ;   in Loop: Header=BB17_479 Depth=1
	s_andn2_saveexec_b64 s[0:1], s[12:13]
; %bb.514:                              ;   in Loop: Header=BB17_479 Depth=1
	v_or_b32_sdwa v2, v2, s27 dst_sel:DWORD dst_unused:UNUSED_PAD src0_sel:BYTE_3 src1_sel:DWORD
	v_cmp_eq_u64_e32 vcc, 0, v[10:11]
	v_cndmask_b32_e32 v4, v2, v4, vcc
; %bb.515:                              ;   in Loop: Header=BB17_479 Depth=1
	s_or_b64 exec, exec, s[0:1]
	v_div_scale_f32 v2, s[0:1], s33, s33, v5
	v_rcp_f32_e32 v3, v2
	v_div_scale_f32 v10, vcc, v5, s33, v5
	v_fma_f32 v16, -v2, v3, 1.0
	v_fmac_f32_e32 v3, v16, v3
	v_mul_f32_e32 v16, v10, v3
	v_fma_f32 v17, -v2, v16, v10
	v_fmac_f32_e32 v16, v17, v3
	v_fma_f32 v2, -v2, v16, v10
	v_div_fmas_f32 v2, v2, v3, v16
	v_div_fixup_f32 v3, v2, s33, v5
	v_and_b32_sdwa v5, v3, s25 dst_sel:DWORD dst_unused:UNUSED_PAD src0_sel:BYTE_3 src1_sel:DWORD
	v_and_b32_e32 v16, 0x7f800000, v3
	v_mov_b32_e32 v17, v11
	v_and_b32_e32 v10, 0x7fffff, v3
	v_or_b32_e32 v2, 0x7e, v5
	v_cmp_ne_u64_e32 vcc, s[6:7], v[16:17]
	s_and_saveexec_b64 s[0:1], vcc
	s_xor_b64 s[12:13], exec, s[0:1]
	s_cbranch_execz .LBB17_525
; %bb.516:                              ;   in Loop: Header=BB17_479 Depth=1
	v_and_b32_e32 v16, 0x7fffffff, v3
	v_mov_b32_e32 v17, v11
	v_cmp_gt_u64_e32 vcc, s[8:9], v[16:17]
	s_and_saveexec_b64 s[14:15], vcc
	s_cbranch_execz .LBB17_524
; %bb.517:                              ;   in Loop: Header=BB17_479 Depth=1
	v_cmp_ne_u32_e32 vcc, 0, v3
	v_mov_b32_e32 v2, 0
	s_and_saveexec_b64 s[16:17], vcc
	s_cbranch_execz .LBB17_523
; %bb.518:                              ;   in Loop: Header=BB17_479 Depth=1
	v_bfe_u32 v2, v3, 23, 8
	v_sub_u32_e32 v16, 0x79, v2
	v_cmp_gt_u32_e32 vcc, s26, v2
	v_cndmask_b32_e32 v16, 0, v16, vcc
	v_cmp_eq_u32_e32 vcc, 0, v2
	v_cndmask_b32_e32 v16, v16, v14, vcc
	v_add_u32_e32 v3, 0xffffff81, v2
	v_or_b32_e32 v17, 0x800000, v10
	v_add_u32_e32 v2, 20, v16
	v_cndmask_b32_e32 v22, v3, v1, vcc
	v_cndmask_b32_e32 v10, v17, v10, vcc
	v_lshlrev_b64 v[2:3], v2, -1
	v_not_b32_e32 v2, v2
	v_lshrrev_b64 v[20:21], v16, v[10:11]
	v_not_b32_e32 v3, v3
	v_and_b32_e32 v2, v10, v2
	v_add_u32_e32 v17, 19, v16
	v_lshrrev_b32_e32 v10, 23, v20
	v_and_b32_e32 v3, 0, v3
	v_lshlrev_b64 v[18:19], v17, 1
	v_add3_u32 v17, v16, v22, v10
	v_bfe_u32 v10, v20, 20, 1
	v_add_u32_e32 v10, -1, v10
	v_cmp_eq_u64_e32 vcc, v[2:3], v[18:19]
	v_cndmask_b32_e32 v2, 0, v10, vcc
	v_add_u32_e32 v2, v2, v20
	v_and_b32_e32 v2, 0xfffff, v2
	v_add_co_u32_e32 v2, vcc, v2, v20
	v_add_u32_e32 v16, 6, v17
	v_addc_co_u32_e32 v3, vcc, 0, v21, vcc
	v_cmp_ne_u32_e32 vcc, 0, v16
                                        ; implicit-def: $vgpr10
	s_and_saveexec_b64 s[0:1], vcc
	s_xor_b64 s[0:1], exec, s[0:1]
; %bb.519:                              ;   in Loop: Header=BB17_479 Depth=1
	v_add_u32_e32 v10, 7, v17
	v_cmp_lt_u64_e32 vcc, s[10:11], v[2:3]
	v_cndmask_b32_e32 v10, v16, v10, vcc
	v_cndmask_b32_e64 v16, 0, 1, vcc
	v_lshrrev_b64 v[2:3], v16, v[2:3]
; %bb.520:                              ;   in Loop: Header=BB17_479 Depth=1
	s_andn2_saveexec_b64 s[0:1], s[0:1]
; %bb.521:                              ;   in Loop: Header=BB17_479 Depth=1
	v_bfe_u32 v10, v2, 23, 1
; %bb.522:                              ;   in Loop: Header=BB17_479 Depth=1
	s_or_b64 exec, exec, s[0:1]
	v_lshrrev_b64 v[2:3], 20, v[2:3]
	v_cmp_gt_i32_e32 vcc, 16, v10
	v_cndmask_b32_e32 v3, 0, v3, vcc
	v_cndmask_b32_e32 v2, 7, v2, vcc
	v_cmp_eq_u64_e64 s[0:1], 0, v[2:3]
	v_min_i32_e32 v3, 15, v10
	v_cmp_eq_u32_e32 vcc, 0, v10
	v_lshlrev_b32_e32 v3, 3, v3
	v_and_or_b32 v2, v2, 7, v3
	s_and_b64 s[0:1], vcc, s[0:1]
	v_cndmask_b32_e64 v2, v2, 0, s[0:1]
	v_or_b32_e32 v2, v2, v5
.LBB17_523:                             ;   in Loop: Header=BB17_479 Depth=1
	s_or_b64 exec, exec, s[16:17]
.LBB17_524:                             ;   in Loop: Header=BB17_479 Depth=1
	s_or_b64 exec, exec, s[14:15]
                                        ; implicit-def: $vgpr3
.LBB17_525:                             ;   in Loop: Header=BB17_479 Depth=1
	s_andn2_saveexec_b64 s[0:1], s[12:13]
	s_cbranch_execz .LBB17_478
; %bb.526:                              ;   in Loop: Header=BB17_479 Depth=1
	v_or_b32_sdwa v3, v3, s27 dst_sel:DWORD dst_unused:UNUSED_PAD src0_sel:BYTE_3 src1_sel:DWORD
	v_cmp_eq_u64_e32 vcc, 0, v[10:11]
	v_cndmask_b32_e32 v2, v3, v2, vcc
	s_branch .LBB17_478
.LBB17_527:
	s_or_b64 exec, exec, s[2:3]
	v_lshl_add_u32 v2, s20, 2, v0
	v_cmp_gt_i32_e32 vcc, s50, v2
	s_and_saveexec_b64 s[20:21], vcc
	s_cbranch_execz .LBB17_551
; %bb.528:
	v_cvt_f32_u32_e32 v1, s68
	v_add_u32_e32 v3, s68, v2
	v_mov_b32_e32 v4, s68
	s_sub_i32 s2, 0, s68
	v_rcp_iflag_f32_e32 v1, v1
	v_cmp_gt_i32_e32 vcc, s50, v3
	v_max_i32_e32 v5, s50, v3
	v_addc_co_u32_e64 v3, s[0:1], v2, v4, vcc
	v_mul_f32_e32 v1, 0x4f7ffffe, v1
	v_cvt_u32_f32_e32 v1, v1
	v_sub_u32_e32 v3, v5, v3
	s_cmp_eq_u32 s68, 1
	v_mul_lo_u32 v4, s2, v1
	v_mul_hi_u32 v4, v1, v4
	v_add_u32_e32 v1, v1, v4
	v_mul_hi_u32 v1, v3, v1
	v_mul_lo_u32 v4, v1, s68
	v_sub_u32_e32 v3, v3, v4
	v_add_u32_e32 v5, 1, v1
	v_cmp_le_u32_e64 s[0:1], s68, v3
	v_subrev_u32_e32 v4, s68, v3
	v_cndmask_b32_e64 v1, v1, v5, s[0:1]
	v_cndmask_b32_e64 v3, v3, v4, s[0:1]
	v_add_u32_e32 v4, 1, v1
	v_cmp_le_u32_e64 s[0:1], s68, v3
	v_cndmask_b32_e64 v1, v1, v4, s[0:1]
	v_addc_co_u32_e32 v1, vcc, 1, v1, vcc
	v_cmp_lt_u32_e32 vcc, 1, v1
	s_cselect_b64 s[0:1], -1, 0
	s_and_b64 s[2:3], vcc, s[0:1]
	s_mov_b64 s[0:1], -1
	s_and_saveexec_b64 s[22:23], s[2:3]
	s_cbranch_execz .LBB17_532
; %bb.529:
	s_lshl_b64 s[0:1], s[18:19], 2
	s_add_u32 s51, s73, s0
	s_addc_u32 s0, s74, s1
	s_add_u32 s52, s75, s18
	s_addc_u32 s1, s76, s19
	v_and_b32_e32 v3, -2, v1
	s_mov_b32 s53, s33
	s_mov_b64 s[24:25], 0
	v_mov_b32_e32 v12, s1
	v_mov_b32_e32 v13, s0
	s_movk_i32 s54, 0x80
	s_mov_b64 s[26:27], 0x7f800000
	s_mov_b64 s[28:29], 0x43e00000
	;; [unrolled: 1-line block ×3, first 2 shown]
	s_movk_i32 s55, 0x7a
	v_mov_b32_e32 v14, 0xffffff82
	v_mov_b32_e32 v15, 0x78
	s_mov_b64 s[36:37], 0xffffff
	s_movk_i32 s56, 0x7f
	v_mov_b32_e32 v5, 0
	v_mov_b32_e32 v6, v2
	;; [unrolled: 1-line block ×3, first 2 shown]
.LBB17_530:                             ; =>This Inner Loop Header: Depth=1
	v_ashrrev_i32_e32 v7, 31, v6
	v_lshlrev_b64 v[8:9], 2, v[6:7]
	v_add_co_u32_e32 v8, vcc, s51, v8
	v_addc_co_u32_e32 v9, vcc, v13, v9, vcc
	global_load_dwordx2 v[18:19], v[8:9], off
	v_add_co_u32_e32 v10, vcc, s52, v6
	v_addc_co_u32_e32 v11, vcc, v12, v7, vcc
	v_mov_b32_e32 v23, v5
	v_mov_b32_e32 v27, v5
	;; [unrolled: 1-line block ×9, first 2 shown]
	v_add_u32_e32 v16, -2, v16
	v_add_u32_e32 v6, 2, v6
	s_waitcnt vmcnt(0)
	v_div_scale_f32 v4, s[0:1], s53, s53, v19
	v_rcp_f32_e32 v17, v4
	v_div_scale_f32 v8, s[0:1], s33, s33, v18
	v_rcp_f32_e32 v20, v8
	v_fma_f32 v24, -v4, v17, 1.0
	v_div_scale_f32 v7, vcc, v19, s53, v19
	v_fmac_f32_e32 v17, v24, v17
	v_fma_f32 v26, -v8, v20, 1.0
	v_mul_f32_e32 v24, v7, v17
	v_div_scale_f32 v22, s[0:1], v18, s33, v18
	v_fmac_f32_e32 v20, v26, v20
	v_fma_f32 v28, -v4, v24, v7
	v_mul_f32_e32 v26, v22, v20
	v_fmac_f32_e32 v24, v28, v17
	v_fma_f32 v30, -v8, v26, v22
	v_fma_f32 v4, -v4, v24, v7
	v_fmac_f32_e32 v26, v30, v20
	v_div_fmas_f32 v4, v4, v17, v24
	v_fma_f32 v7, -v8, v26, v22
	v_div_fixup_f32 v17, v4, s53, v19
	s_mov_b64 vcc, s[0:1]
	v_div_fmas_f32 v4, v7, v20, v26
	v_and_b32_e32 v22, 0x7f800000, v17
	v_and_b32_e32 v26, 0x7fffffff, v17
	v_div_fixup_f32 v7, v4, s33, v18
	v_cmp_ne_u64_e64 s[2:3], s[26:27], v[22:23]
	v_cmp_gt_u64_e64 s[12:13], s[34:35], v[26:27]
	v_bfe_u32 v18, v17, 23, 8
	v_cmp_ne_u32_e64 s[10:11], 0, v17
	v_bfe_u32 v19, v7, 23, 8
	v_and_b32_e32 v20, 0x7f800000, v7
	s_and_b64 s[40:41], s[2:3], s[12:13]
	v_sub_u32_e32 v23, 0x79, v18
	v_cmp_ne_u64_e64 s[6:7], s[26:27], v[20:21]
	v_sub_u32_e32 v21, 0x79, v19
	v_cmp_gt_u32_e64 s[12:13], s55, v18
	s_and_b64 s[44:45], s[40:41], s[10:11]
	v_cmp_gt_u32_e64 s[10:11], s55, v19
	v_and_b32_e32 v4, 0x7fffff, v7
	v_and_b32_e32 v24, 0x7fffffff, v7
	v_add_u32_e32 v22, 0xffffff81, v18
	v_cndmask_b32_e64 v23, 0, v23, s[12:13]
	v_cmp_eq_u32_e64 s[12:13], 0, v18
	v_cndmask_b32_e64 v18, 0, v21, s[10:11]
	v_cmp_eq_u32_e64 s[10:11], 0, v19
	v_cmp_lt_u64_e64 s[8:9], s[28:29], v[24:25]
	v_cmp_gt_u64_e64 s[16:17], s[34:35], v[24:25]
	v_or_b32_e32 v24, 0x800000, v4
	v_cndmask_b32_e64 v40, v23, v15, s[12:13]
	v_cndmask_b32_e64 v41, v18, v15, s[10:11]
	v_and_b32_e32 v8, 0x7fffff, v17
	v_cndmask_b32_e64 v28, v24, v4, s[10:11]
	v_add_u32_e32 v18, 20, v40
	v_add_u32_e32 v24, 20, v41
	v_cmp_lt_u64_e64 s[4:5], s[28:29], v[26:27]
	v_or_b32_e32 v26, 0x800000, v8
	v_add_u32_e32 v20, 0xffffff81, v19
	v_lshlrev_b64 v[18:19], v18, -1
	v_lshlrev_b64 v[24:25], v24, -1
	v_cndmask_b32_e64 v30, v26, v8, s[12:13]
	v_not_b32_e32 v25, v18
	v_not_b32_e32 v24, v24
	v_cndmask_b32_e64 v26, v20, v14, s[10:11]
	v_add_u32_e32 v20, 19, v40
	v_and_b32_e32 v32, v30, v25
	v_and_b32_e32 v34, v28, v24
	v_lshrrev_b64 v[24:25], v40, v[30:31]
	v_cndmask_b32_e64 v39, v22, v14, s[12:13]
	v_add_u32_e32 v19, 19, v41
	v_lshlrev_b64 v[20:21], v20, 1
	v_lshrrev_b64 v[22:23], v41, v[28:29]
	v_lshrrev_b32_e32 v29, 23, v24
	v_bfe_u32 v31, v24, 20, 1
	v_lshlrev_b64 v[18:19], v19, 1
	v_add3_u32 v29, v40, v39, v29
	v_bfe_u32 v39, v22, 20, 1
	v_add_u32_e32 v31, -1, v31
	v_cmp_eq_u64_e64 s[10:11], v[32:33], v[20:21]
	v_add_u32_e32 v39, -1, v39
	v_cndmask_b32_e64 v20, 0, v31, s[10:11]
	v_cmp_eq_u64_e64 s[10:11], v[34:35], v[18:19]
	v_cndmask_b32_e64 v18, 0, v39, s[10:11]
	v_add_u32_e32 v18, v18, v22
	v_and_b32_e32 v18, 0xfffff, v18
	v_add_u32_e32 v19, v20, v24
	v_add_co_u32_e64 v18, s[10:11], v18, v22
	v_and_b32_e32 v20, 0xfffff, v19
	v_addc_co_u32_e64 v19, s[10:11], 0, v23, s[10:11]
	v_lshrrev_b32_e32 v28, 23, v22
	v_add_co_u32_e64 v20, s[10:11], v20, v24
	v_add3_u32 v26, v41, v26, v28
	v_add_u32_e32 v30, 6, v29
	v_addc_co_u32_e64 v21, s[10:11], 0, v25, s[10:11]
	v_cmp_ne_u32_e64 s[14:15], 0, v7
	s_and_b64 s[48:49], s[6:7], s[16:17]
	v_add_u32_e32 v28, 6, v26
	v_cmp_ne_u32_e64 s[10:11], 0, v30
	v_add_u32_e32 v22, 7, v29
	v_cmp_lt_u64_e64 s[16:17], s[36:37], v[20:21]
	s_and_b64 s[46:47], s[48:49], s[14:15]
	v_cmp_ne_u32_e64 s[12:13], 0, v28
	v_add_u32_e32 v23, 7, v26
	v_cmp_lt_u64_e64 s[14:15], s[36:37], v[18:19]
	v_cndmask_b32_e64 v22, v30, v22, s[16:17]
	v_bfe_u32 v25, v20, 23, 1
	s_and_b64 s[10:11], s[44:45], s[10:11]
	v_cndmask_b32_e64 v23, v28, v23, s[14:15]
	v_bfe_u32 v24, v18, 23, 1
	v_cndmask_b32_e64 v22, v25, v22, s[10:11]
	s_and_b64 s[12:13], s[46:47], s[12:13]
	s_and_b64 s[10:11], s[10:11], s[16:17]
	v_cndmask_b32_e64 v23, v24, v23, s[12:13]
	v_cndmask_b32_e64 v24, 0, 1, s[10:11]
	s_and_b64 s[10:11], s[12:13], s[14:15]
	v_cndmask_b32_e64 v25, 0, 1, s[10:11]
	v_lshrrev_b64 v[18:19], v25, v[18:19]
	v_and_b32_sdwa v36, v17, s54 dst_sel:DWORD dst_unused:UNUSED_PAD src0_sel:BYTE_3 src1_sel:DWORD
	v_lshrrev_b64 v[20:21], v24, v[20:21]
	v_lshrrev_b64 v[18:19], 20, v[18:19]
	v_cmp_gt_i32_e64 s[10:11], 16, v23
	s_and_b64 s[60:61], s[2:3], s[4:5]
	v_cmp_eq_u64_e64 s[2:3], 0, v[8:9]
	v_cmp_eq_u32_e32 vcc, 0, v17
	v_and_b32_sdwa v37, v7, s54 dst_sel:DWORD dst_unused:UNUSED_PAD src0_sel:BYTE_3 src1_sel:DWORD
	v_or_b32_e32 v38, 0x7e, v36
	v_lshrrev_b64 v[20:21], 20, v[20:21]
	v_cndmask_b32_e64 v19, 0, v19, s[10:11]
	v_cndmask_b32_e64 v18, 7, v18, s[10:11]
	v_cmp_gt_i32_e64 s[10:11], 16, v22
	s_and_b64 s[6:7], s[6:7], s[8:9]
	v_or_b32_sdwa v17, v17, s56 dst_sel:DWORD dst_unused:UNUSED_PAD src0_sel:BYTE_3 src1_sel:DWORD
	v_cmp_eq_u64_e64 s[4:5], 0, v[4:5]
	s_or_b64 s[2:3], s[60:61], s[2:3]
	v_cmp_eq_u32_e64 s[0:1], 0, v7
	v_or_b32_e32 v27, 0x7e, v37
	v_cndmask_b32_e64 v21, 0, v21, s[10:11]
	v_cndmask_b32_e64 v20, 7, v20, s[10:11]
	v_cmp_eq_u32_e64 s[12:13], 0, v23
	v_cmp_eq_u64_e64 s[16:17], 0, v[18:19]
	v_or_b32_sdwa v7, v7, s56 dst_sel:DWORD dst_unused:UNUSED_PAD src0_sel:BYTE_3 src1_sel:DWORD
	v_cndmask_b32_e64 v4, v17, v38, s[2:3]
	s_or_b64 s[2:3], s[6:7], s[4:5]
	v_cmp_eq_u32_e64 s[10:11], 0, v22
	v_cmp_eq_u64_e64 s[14:15], 0, v[20:21]
	s_and_b64 s[12:13], s[12:13], s[16:17]
	v_cndmask_b32_e64 v7, v7, v27, s[2:3]
	s_and_b64 s[0:1], s[48:49], s[0:1]
	s_and_b64 s[10:11], s[10:11], s[14:15]
	v_min_i32_e32 v19, 15, v22
	s_and_b64 s[2:3], s[40:41], vcc
	v_cndmask_b32_e64 v7, v7, 0, s[0:1]
	s_and_b64 vcc, s[46:47], s[12:13]
	s_xor_b64 s[14:15], s[10:11], -1
	v_min_i32_e32 v21, 15, v23
	v_lshl_or_b32 v19, v19, 3, v36
	v_cndmask_b32_e64 v4, v4, 0, s[2:3]
	v_cndmask_b32_e32 v7, v7, v37, vcc
	s_and_b64 vcc, s[44:45], s[10:11]
	s_xor_b64 s[16:17], s[12:13], -1
	v_lshl_or_b32 v21, v21, 3, v37
	v_and_or_b32 v19, v20, 7, v19
	v_cndmask_b32_e32 v4, v4, v36, vcc
	s_and_b64 vcc, s[44:45], s[14:15]
	v_and_or_b32 v18, v18, 7, v21
	v_cndmask_b32_e32 v4, v4, v19, vcc
	s_and_b64 vcc, s[46:47], s[16:17]
	v_lshlrev_b16_e32 v4, 8, v4
	v_cndmask_b32_e32 v7, v7, v18, vcc
	v_cmp_eq_u32_e32 vcc, 0, v16
	v_or_b32_sdwa v4, v7, v4 dst_sel:DWORD dst_unused:UNUSED_PAD src0_sel:BYTE_0 src1_sel:DWORD
	s_or_b64 s[24:25], vcc, s[24:25]
	global_store_short v[10:11], v4, off
	s_andn2_b64 exec, exec, s[24:25]
	s_cbranch_execnz .LBB17_530
; %bb.531:
	s_or_b64 exec, exec, s[24:25]
	v_cmp_ne_u32_e32 vcc, v1, v3
	v_add_u32_e32 v2, v2, v3
	s_orn2_b64 s[0:1], vcc, exec
.LBB17_532:
	s_or_b64 exec, exec, s[22:23]
	s_and_b64 exec, exec, s[0:1]
	s_cbranch_execz .LBB17_551
; %bb.533:
	s_lshl_b64 s[0:1], s[18:19], 2
	s_add_u32 s0, s30, s0
	s_addc_u32 s1, s31, s1
	v_ashrrev_i32_e32 v3, 31, v2
	s_add_u32 s0, s38, s0
	v_lshlrev_b64 v[6:7], 2, v[2:3]
	s_addc_u32 s1, s39, s1
	s_lshl_b32 s23, s68, 2
	v_add_co_u32_e32 v6, vcc, s0, v6
	s_add_u32 s0, s18, s70
	v_mov_b32_e32 v1, s1
	s_addc_u32 s1, s19, s69
	s_add_u32 s0, s0, s72
	s_addc_u32 s1, s1, s71
	s_add_u32 s0, s42, s0
	v_addc_co_u32_e32 v7, vcc, v1, v7, vcc
	s_addc_u32 s1, s43, s1
	v_mov_b32_e32 v4, s1
	v_add_co_u32_e32 v1, vcc, s0, v2
	s_mov_b32 s22, 0
	v_mov_b32_e32 v5, 0
	v_addc_co_u32_e32 v3, vcc, v4, v3, vcc
	s_mov_b64 s[2:3], 0
	s_movk_i32 s18, 0x80
	s_mov_b64 s[4:5], 0x7f800000
	s_mov_b64 s[6:7], 0x43e00001
	s_movk_i32 s19, 0x7a
	s_mov_b64 s[8:9], 0xffffff
	s_movk_i32 s24, 0x7f
	v_mov_b32_e32 v10, 0xffffff82
	v_mov_b32_e32 v11, 0x78
	s_mov_b64 s[10:11], 0
	s_branch .LBB17_535
.LBB17_534:                             ;   in Loop: Header=BB17_535 Depth=1
	s_or_b64 exec, exec, s[0:1]
	v_mov_b32_e32 v4, s11
	v_add_co_u32_e32 v12, vcc, s10, v1
	s_add_u32 s10, s10, s68
	v_addc_co_u32_e32 v13, vcc, v3, v4, vcc
	v_add_u32_e32 v4, s10, v2
	s_addc_u32 s11, s11, 0
	v_cmp_le_i32_e32 vcc, s50, v4
	v_mov_b32_e32 v8, s22
	s_or_b64 s[2:3], vcc, s[2:3]
	v_add_co_u32_e32 v6, vcc, s23, v6
	v_addc_co_u32_e32 v7, vcc, v7, v8, vcc
	global_store_byte v[12:13], v9, off
	s_andn2_b64 exec, exec, s[2:3]
	s_cbranch_execz .LBB17_551
.LBB17_535:                             ; =>This Inner Loop Header: Depth=1
	global_load_dword v4, v[6:7], off
	v_mov_b32_e32 v15, v5
	s_waitcnt vmcnt(0)
	v_div_scale_f32 v8, s[0:1], s33, s33, v4
	v_rcp_f32_e32 v9, v8
	v_div_scale_f32 v12, vcc, v4, s33, v4
	v_fma_f32 v13, -v8, v9, 1.0
	v_fmac_f32_e32 v9, v13, v9
	v_mul_f32_e32 v13, v12, v9
	v_fma_f32 v14, -v8, v13, v12
	v_fmac_f32_e32 v13, v14, v9
	v_fma_f32 v8, -v8, v13, v12
	v_div_fmas_f32 v8, v8, v9, v13
	v_div_fixup_f32 v8, v8, s33, v4
	v_and_b32_sdwa v12, v8, s18 dst_sel:DWORD dst_unused:UNUSED_PAD src0_sel:BYTE_3 src1_sel:DWORD
	v_and_b32_e32 v14, 0x7f800000, v8
	v_and_b32_e32 v4, 0x7fffff, v8
	v_or_b32_e32 v9, 0x7e, v12
	v_cmp_ne_u64_e32 vcc, s[4:5], v[14:15]
	s_and_saveexec_b64 s[0:1], vcc
	s_xor_b64 s[12:13], exec, s[0:1]
	s_cbranch_execz .LBB17_549
; %bb.536:                              ;   in Loop: Header=BB17_535 Depth=1
	v_and_b32_e32 v14, 0x7fffffff, v8
	v_mov_b32_e32 v15, v5
	v_cmp_gt_u64_e32 vcc, s[6:7], v[14:15]
	s_and_saveexec_b64 s[0:1], vcc
	s_xor_b64 s[14:15], exec, s[0:1]
	s_cbranch_execz .LBB17_548
; %bb.537:                              ;   in Loop: Header=BB17_535 Depth=1
	v_cmp_ne_u32_e32 vcc, 0, v8
	v_mov_b32_e32 v9, 0
	s_and_saveexec_b64 s[16:17], vcc
	s_cbranch_execz .LBB17_547
; %bb.538:                              ;   in Loop: Header=BB17_535 Depth=1
	v_bfe_u32 v8, v8, 23, 8
	v_sub_u32_e32 v13, 0x79, v8
	v_cmp_gt_u32_e32 vcc, s19, v8
	v_cndmask_b32_e32 v13, 0, v13, vcc
	v_cmp_eq_u32_e32 vcc, 0, v8
	v_cndmask_b32_e32 v13, v13, v11, vcc
	v_add_u32_e32 v9, 0xffffff81, v8
	v_or_b32_e32 v14, 0x800000, v4
	v_add_u32_e32 v8, 20, v13
	v_cndmask_b32_e32 v15, v9, v10, vcc
	v_cndmask_b32_e32 v4, v14, v4, vcc
	v_lshlrev_b64 v[8:9], v8, -1
	v_not_b32_e32 v8, v8
	v_lshrrev_b64 v[18:19], v13, v[4:5]
	v_not_b32_e32 v9, v9
	v_and_b32_e32 v8, v4, v8
	v_add_u32_e32 v14, 19, v13
	v_lshrrev_b32_e32 v4, 23, v18
	v_and_b32_e32 v9, 0, v9
	v_lshlrev_b64 v[16:17], v14, 1
	v_add3_u32 v14, v13, v15, v4
	v_bfe_u32 v4, v18, 20, 1
	v_add_u32_e32 v4, -1, v4
	v_cmp_eq_u64_e32 vcc, v[8:9], v[16:17]
	v_cndmask_b32_e32 v4, 0, v4, vcc
	v_add_u32_e32 v4, v4, v18
	v_and_b32_e32 v4, 0xfffff, v4
	v_add_co_u32_e32 v8, vcc, v4, v18
	v_add_u32_e32 v13, 6, v14
	v_addc_co_u32_e32 v9, vcc, 0, v19, vcc
	v_cmp_ne_u32_e32 vcc, 0, v13
                                        ; implicit-def: $vgpr4
	s_and_saveexec_b64 s[0:1], vcc
	s_xor_b64 s[0:1], exec, s[0:1]
; %bb.539:                              ;   in Loop: Header=BB17_535 Depth=1
	v_add_u32_e32 v4, 7, v14
	v_cmp_lt_u64_e32 vcc, s[8:9], v[8:9]
	v_cndmask_b32_e32 v4, v13, v4, vcc
	v_cndmask_b32_e64 v13, 0, 1, vcc
	v_lshrrev_b64 v[8:9], v13, v[8:9]
; %bb.540:                              ;   in Loop: Header=BB17_535 Depth=1
	s_andn2_saveexec_b64 s[0:1], s[0:1]
; %bb.541:                              ;   in Loop: Header=BB17_535 Depth=1
	v_bfe_u32 v4, v8, 23, 1
; %bb.542:                              ;   in Loop: Header=BB17_535 Depth=1
	s_or_b64 exec, exec, s[0:1]
	v_lshrrev_b64 v[8:9], 20, v[8:9]
	v_cmp_gt_i32_e32 vcc, 16, v4
	v_cndmask_b32_e32 v9, 0, v9, vcc
	v_cndmask_b32_e32 v8, 7, v8, vcc
	v_cmp_ne_u32_e32 vcc, 0, v4
	v_cmp_ne_u64_e64 s[0:1], 0, v[8:9]
	s_or_b64 s[0:1], vcc, s[0:1]
                                        ; implicit-def: $vgpr9
	s_and_saveexec_b64 s[26:27], s[0:1]
	s_xor_b64 s[0:1], exec, s[26:27]
; %bb.543:                              ;   in Loop: Header=BB17_535 Depth=1
	v_min_i32_e32 v4, 15, v4
	v_lshl_or_b32 v4, v4, 3, v12
	v_and_or_b32 v9, v8, 7, v4
                                        ; implicit-def: $vgpr12
; %bb.544:                              ;   in Loop: Header=BB17_535 Depth=1
	s_andn2_saveexec_b64 s[0:1], s[0:1]
; %bb.545:                              ;   in Loop: Header=BB17_535 Depth=1
	v_mov_b32_e32 v9, v12
; %bb.546:                              ;   in Loop: Header=BB17_535 Depth=1
	s_or_b64 exec, exec, s[0:1]
.LBB17_547:                             ;   in Loop: Header=BB17_535 Depth=1
	s_or_b64 exec, exec, s[16:17]
.LBB17_548:                             ;   in Loop: Header=BB17_535 Depth=1
	s_andn2_saveexec_b64 s[0:1], s[14:15]
	s_or_b64 exec, exec, s[0:1]
                                        ; implicit-def: $vgpr8
.LBB17_549:                             ;   in Loop: Header=BB17_535 Depth=1
	s_andn2_saveexec_b64 s[0:1], s[12:13]
	s_cbranch_execz .LBB17_534
; %bb.550:                              ;   in Loop: Header=BB17_535 Depth=1
	v_or_b32_sdwa v8, v8, s24 dst_sel:DWORD dst_unused:UNUSED_PAD src0_sel:BYTE_3 src1_sel:DWORD
	v_cmp_eq_u64_e32 vcc, 0, v[4:5]
	v_cndmask_b32_e32 v9, v8, v9, vcc
	s_branch .LBB17_534
.LBB17_551:
	s_or_b64 exec, exec, s[20:21]
	s_mov_b64 s[0:1], 0
.LBB17_552:
	s_and_b64 vcc, exec, s[0:1]
	s_cbranch_vccz .LBB17_604
; %bb.553:
	s_ashr_i32 s16, s58, 2
	v_cmp_gt_i32_e32 vcc, s16, v0
	s_and_saveexec_b64 s[0:1], vcc
	s_cbranch_execz .LBB17_604
; %bb.554:
	s_add_u32 s0, s70, s72
	s_addc_u32 s1, s69, s71
	s_add_u32 s0, s42, s0
	v_lshlrev_b32_e32 v1, 2, v0
	s_addc_u32 s1, s43, s1
	s_lshl_b32 s18, s68, 2
	v_mov_b32_e32 v2, s1
	v_add_co_u32_e32 v6, vcc, s0, v1
	s_add_u32 s0, s38, s30
	v_addc_co_u32_e32 v7, vcc, 0, v2, vcc
	v_lshlrev_b32_e32 v1, 4, v0
	s_addc_u32 s1, s39, s31
	v_mov_b32_e32 v2, s1
	v_add_co_u32_e32 v1, vcc, s0, v1
	v_addc_co_u32_e32 v2, vcc, 0, v2, vcc
	s_mov_b32 s17, 0
	v_add_co_u32_e32 v8, vcc, 8, v1
	v_addc_co_u32_e32 v9, vcc, 0, v2, vcc
	s_lshl_b32 s19, s68, 4
	s_mov_b32 s20, s17
	s_mov_b64 s[2:3], 0
	v_mov_b32_e32 v11, 0
	s_movk_i32 s21, 0x80
	s_mov_b64 s[4:5], 0x7f800000
	s_mov_b64 s[6:7], 0x43e00001
	s_movk_i32 s22, 0x7a
	s_mov_b64 s[8:9], 0xffffff
	s_movk_i32 s23, 0x7f
	s_mov_b32 s24, 0x4020c0c
	v_mov_b32_e32 v1, 0xffffff82
	v_mov_b32_e32 v14, 0x78
	s_branch .LBB17_556
.LBB17_555:                             ;   in Loop: Header=BB17_556 Depth=1
	s_or_b64 exec, exec, s[0:1]
	v_lshlrev_b32_e32 v3, 16, v4
	v_perm_b32 v2, v2, v3, s24
	v_lshlrev_b32_e32 v3, 8, v13
	v_and_b32_e32 v3, 0xff00, v3
	v_and_b32_e32 v4, 0xff, v12
	v_or3_b32 v2, v2, v3, v4
	global_store_dword v[6:7], v2, off
	v_mov_b32_e32 v2, s17
	v_add_co_u32_e32 v6, vcc, s18, v6
	v_add_u32_e32 v0, s68, v0
	v_addc_co_u32_e32 v7, vcc, v7, v2, vcc
	v_cmp_le_i32_e32 vcc, s16, v0
	v_mov_b32_e32 v2, s20
	s_or_b64 s[2:3], vcc, s[2:3]
	v_add_co_u32_e32 v8, vcc, s19, v8
	v_addc_co_u32_e32 v9, vcc, v9, v2, vcc
	s_andn2_b64 exec, exec, s[2:3]
	s_cbranch_execz .LBB17_604
.LBB17_556:                             ; =>This Inner Loop Header: Depth=1
	global_load_dwordx4 v[2:5], v[8:9], off offset:-8
	v_mov_b32_e32 v17, v11
	s_waitcnt vmcnt(0)
	v_div_scale_f32 v10, s[0:1], s33, s33, v2
	v_rcp_f32_e32 v12, v10
	v_div_scale_f32 v13, vcc, v2, s33, v2
	v_fma_f32 v15, -v10, v12, 1.0
	v_fmac_f32_e32 v12, v15, v12
	v_mul_f32_e32 v15, v13, v12
	v_fma_f32 v16, -v10, v15, v13
	v_fmac_f32_e32 v15, v16, v12
	v_fma_f32 v10, -v10, v15, v13
	v_div_fmas_f32 v10, v10, v12, v15
	v_div_fixup_f32 v13, v10, s33, v2
	v_and_b32_sdwa v2, v13, s21 dst_sel:DWORD dst_unused:UNUSED_PAD src0_sel:BYTE_3 src1_sel:DWORD
	v_and_b32_e32 v16, 0x7f800000, v13
	v_and_b32_e32 v10, 0x7fffff, v13
	v_or_b32_e32 v12, 0x7e, v2
	v_cmp_ne_u64_e32 vcc, s[4:5], v[16:17]
	s_and_saveexec_b64 s[0:1], vcc
	s_xor_b64 s[10:11], exec, s[0:1]
	s_cbranch_execz .LBB17_566
; %bb.557:                              ;   in Loop: Header=BB17_556 Depth=1
	v_and_b32_e32 v16, 0x7fffffff, v13
	v_mov_b32_e32 v17, v11
	v_cmp_gt_u64_e32 vcc, s[6:7], v[16:17]
	s_and_saveexec_b64 s[12:13], vcc
	s_cbranch_execz .LBB17_565
; %bb.558:                              ;   in Loop: Header=BB17_556 Depth=1
	v_cmp_ne_u32_e32 vcc, 0, v13
	v_mov_b32_e32 v12, 0
	s_and_saveexec_b64 s[14:15], vcc
	s_cbranch_execz .LBB17_564
; %bb.559:                              ;   in Loop: Header=BB17_556 Depth=1
	v_bfe_u32 v12, v13, 23, 8
	v_sub_u32_e32 v15, 0x79, v12
	v_cmp_gt_u32_e32 vcc, s22, v12
	v_cndmask_b32_e32 v15, 0, v15, vcc
	v_cmp_eq_u32_e32 vcc, 0, v12
	v_cndmask_b32_e32 v15, v15, v14, vcc
	v_add_u32_e32 v13, 0xffffff81, v12
	v_or_b32_e32 v16, 0x800000, v10
	v_add_u32_e32 v12, 20, v15
	v_cndmask_b32_e32 v17, v13, v1, vcc
	v_cndmask_b32_e32 v10, v16, v10, vcc
	v_lshlrev_b64 v[12:13], v12, -1
	v_not_b32_e32 v12, v12
	v_lshrrev_b64 v[20:21], v15, v[10:11]
	v_not_b32_e32 v13, v13
	v_and_b32_e32 v12, v10, v12
	v_add_u32_e32 v16, 19, v15
	v_lshrrev_b32_e32 v10, 23, v20
	v_and_b32_e32 v13, 0, v13
	v_lshlrev_b64 v[18:19], v16, 1
	v_add3_u32 v16, v15, v17, v10
	v_bfe_u32 v10, v20, 20, 1
	v_add_u32_e32 v10, -1, v10
	v_cmp_eq_u64_e32 vcc, v[12:13], v[18:19]
	v_cndmask_b32_e32 v10, 0, v10, vcc
	v_add_u32_e32 v10, v10, v20
	v_and_b32_e32 v10, 0xfffff, v10
	v_add_co_u32_e32 v12, vcc, v10, v20
	v_add_u32_e32 v15, 6, v16
	v_addc_co_u32_e32 v13, vcc, 0, v21, vcc
	v_cmp_ne_u32_e32 vcc, 0, v15
                                        ; implicit-def: $vgpr10
	s_and_saveexec_b64 s[0:1], vcc
	s_xor_b64 s[0:1], exec, s[0:1]
; %bb.560:                              ;   in Loop: Header=BB17_556 Depth=1
	v_add_u32_e32 v10, 7, v16
	v_cmp_lt_u64_e32 vcc, s[8:9], v[12:13]
	v_cndmask_b32_e32 v10, v15, v10, vcc
	v_cndmask_b32_e64 v15, 0, 1, vcc
	v_lshrrev_b64 v[12:13], v15, v[12:13]
; %bb.561:                              ;   in Loop: Header=BB17_556 Depth=1
	s_andn2_saveexec_b64 s[0:1], s[0:1]
; %bb.562:                              ;   in Loop: Header=BB17_556 Depth=1
	v_bfe_u32 v10, v12, 23, 1
; %bb.563:                              ;   in Loop: Header=BB17_556 Depth=1
	s_or_b64 exec, exec, s[0:1]
	v_lshrrev_b64 v[12:13], 20, v[12:13]
	v_cmp_gt_i32_e32 vcc, 16, v10
	v_cndmask_b32_e32 v13, 0, v13, vcc
	v_cndmask_b32_e32 v12, 7, v12, vcc
	v_cmp_eq_u32_e32 vcc, 0, v10
	v_min_i32_e32 v10, 15, v10
	v_cmp_eq_u64_e64 s[0:1], 0, v[12:13]
	v_lshlrev_b32_e32 v10, 3, v10
	v_and_or_b32 v10, v12, 7, v10
	s_and_b64 s[0:1], vcc, s[0:1]
	v_cndmask_b32_e64 v10, v10, 0, s[0:1]
	v_or_b32_e32 v12, v10, v2
.LBB17_564:                             ;   in Loop: Header=BB17_556 Depth=1
	s_or_b64 exec, exec, s[14:15]
.LBB17_565:                             ;   in Loop: Header=BB17_556 Depth=1
	s_or_b64 exec, exec, s[12:13]
                                        ; implicit-def: $vgpr13
.LBB17_566:                             ;   in Loop: Header=BB17_556 Depth=1
	s_andn2_saveexec_b64 s[0:1], s[10:11]
; %bb.567:                              ;   in Loop: Header=BB17_556 Depth=1
	v_or_b32_sdwa v2, v13, s23 dst_sel:DWORD dst_unused:UNUSED_PAD src0_sel:BYTE_3 src1_sel:DWORD
	v_cmp_eq_u64_e32 vcc, 0, v[10:11]
	v_cndmask_b32_e32 v12, v2, v12, vcc
; %bb.568:                              ;   in Loop: Header=BB17_556 Depth=1
	s_or_b64 exec, exec, s[0:1]
	v_div_scale_f32 v2, s[0:1], s33, s33, v3
	v_rcp_f32_e32 v10, v2
	v_div_scale_f32 v13, vcc, v3, s33, v3
	v_mov_b32_e32 v17, v11
	v_fma_f32 v15, -v2, v10, 1.0
	v_fmac_f32_e32 v10, v15, v10
	v_mul_f32_e32 v15, v13, v10
	v_fma_f32 v16, -v2, v15, v13
	v_fmac_f32_e32 v15, v16, v10
	v_fma_f32 v2, -v2, v15, v13
	v_div_fmas_f32 v2, v2, v10, v15
	v_div_fixup_f32 v2, v2, s33, v3
	v_and_b32_sdwa v15, v2, s21 dst_sel:DWORD dst_unused:UNUSED_PAD src0_sel:BYTE_3 src1_sel:DWORD
	v_and_b32_e32 v16, 0x7f800000, v2
	v_and_b32_e32 v10, 0x7fffff, v2
	v_or_b32_e32 v13, 0x7e, v15
	v_cmp_ne_u64_e32 vcc, s[4:5], v[16:17]
	s_and_saveexec_b64 s[0:1], vcc
	s_xor_b64 s[10:11], exec, s[0:1]
	s_cbranch_execz .LBB17_578
; %bb.569:                              ;   in Loop: Header=BB17_556 Depth=1
	v_and_b32_e32 v16, 0x7fffffff, v2
	v_mov_b32_e32 v17, v11
	v_cmp_gt_u64_e32 vcc, s[6:7], v[16:17]
	s_and_saveexec_b64 s[12:13], vcc
	s_cbranch_execz .LBB17_577
; %bb.570:                              ;   in Loop: Header=BB17_556 Depth=1
	v_cmp_ne_u32_e32 vcc, 0, v2
	v_mov_b32_e32 v13, 0
	s_and_saveexec_b64 s[14:15], vcc
	s_cbranch_execz .LBB17_576
; %bb.571:                              ;   in Loop: Header=BB17_556 Depth=1
	v_bfe_u32 v2, v2, 23, 8
	v_sub_u32_e32 v13, 0x79, v2
	v_cmp_gt_u32_e32 vcc, s22, v2
	v_cndmask_b32_e32 v13, 0, v13, vcc
	v_cmp_eq_u32_e32 vcc, 0, v2
	v_cndmask_b32_e32 v13, v13, v14, vcc
	v_add_u32_e32 v3, 0xffffff81, v2
	v_or_b32_e32 v16, 0x800000, v10
	v_add_u32_e32 v2, 20, v13
	v_cndmask_b32_e32 v17, v3, v1, vcc
	v_cndmask_b32_e32 v10, v16, v10, vcc
	v_lshlrev_b64 v[2:3], v2, -1
	v_not_b32_e32 v2, v2
	v_lshrrev_b64 v[20:21], v13, v[10:11]
	v_not_b32_e32 v3, v3
	v_and_b32_e32 v2, v10, v2
	v_add_u32_e32 v16, 19, v13
	v_lshrrev_b32_e32 v10, 23, v20
	v_and_b32_e32 v3, 0, v3
	v_lshlrev_b64 v[18:19], v16, 1
	v_add3_u32 v16, v13, v17, v10
	v_bfe_u32 v10, v20, 20, 1
	v_add_u32_e32 v10, -1, v10
	v_cmp_eq_u64_e32 vcc, v[2:3], v[18:19]
	v_cndmask_b32_e32 v2, 0, v10, vcc
	v_add_u32_e32 v2, v2, v20
	v_and_b32_e32 v2, 0xfffff, v2
	v_add_co_u32_e32 v2, vcc, v2, v20
	v_add_u32_e32 v13, 6, v16
	v_addc_co_u32_e32 v3, vcc, 0, v21, vcc
	v_cmp_ne_u32_e32 vcc, 0, v13
                                        ; implicit-def: $vgpr10
	s_and_saveexec_b64 s[0:1], vcc
	s_xor_b64 s[0:1], exec, s[0:1]
; %bb.572:                              ;   in Loop: Header=BB17_556 Depth=1
	v_add_u32_e32 v10, 7, v16
	v_cmp_lt_u64_e32 vcc, s[8:9], v[2:3]
	v_cndmask_b32_e32 v10, v13, v10, vcc
	v_cndmask_b32_e64 v13, 0, 1, vcc
	v_lshrrev_b64 v[2:3], v13, v[2:3]
; %bb.573:                              ;   in Loop: Header=BB17_556 Depth=1
	s_andn2_saveexec_b64 s[0:1], s[0:1]
; %bb.574:                              ;   in Loop: Header=BB17_556 Depth=1
	v_bfe_u32 v10, v2, 23, 1
; %bb.575:                              ;   in Loop: Header=BB17_556 Depth=1
	s_or_b64 exec, exec, s[0:1]
	v_lshrrev_b64 v[2:3], 20, v[2:3]
	v_cmp_gt_i32_e32 vcc, 16, v10
	v_cndmask_b32_e32 v3, 0, v3, vcc
	v_cndmask_b32_e32 v2, 7, v2, vcc
	v_cmp_eq_u64_e64 s[0:1], 0, v[2:3]
	v_min_i32_e32 v3, 15, v10
	v_cmp_eq_u32_e32 vcc, 0, v10
	v_lshlrev_b32_e32 v3, 3, v3
	v_and_or_b32 v2, v2, 7, v3
	s_and_b64 s[0:1], vcc, s[0:1]
	v_cndmask_b32_e64 v2, v2, 0, s[0:1]
	v_or_b32_e32 v13, v2, v15
.LBB17_576:                             ;   in Loop: Header=BB17_556 Depth=1
	s_or_b64 exec, exec, s[14:15]
.LBB17_577:                             ;   in Loop: Header=BB17_556 Depth=1
	s_or_b64 exec, exec, s[12:13]
                                        ; implicit-def: $vgpr2
.LBB17_578:                             ;   in Loop: Header=BB17_556 Depth=1
	s_andn2_saveexec_b64 s[0:1], s[10:11]
; %bb.579:                              ;   in Loop: Header=BB17_556 Depth=1
	v_or_b32_sdwa v2, v2, s23 dst_sel:DWORD dst_unused:UNUSED_PAD src0_sel:BYTE_3 src1_sel:DWORD
	v_cmp_eq_u64_e32 vcc, 0, v[10:11]
	v_cndmask_b32_e32 v13, v2, v13, vcc
; %bb.580:                              ;   in Loop: Header=BB17_556 Depth=1
	s_or_b64 exec, exec, s[0:1]
	v_div_scale_f32 v2, s[0:1], s33, s33, v4
	v_rcp_f32_e32 v3, v2
	v_div_scale_f32 v10, vcc, v4, s33, v4
	v_mov_b32_e32 v17, v11
	v_fma_f32 v15, -v2, v3, 1.0
	v_fmac_f32_e32 v3, v15, v3
	v_mul_f32_e32 v15, v10, v3
	v_fma_f32 v16, -v2, v15, v10
	v_fmac_f32_e32 v15, v16, v3
	v_fma_f32 v2, -v2, v15, v10
	v_div_fmas_f32 v2, v2, v3, v15
	v_div_fixup_f32 v2, v2, s33, v4
	v_and_b32_sdwa v15, v2, s21 dst_sel:DWORD dst_unused:UNUSED_PAD src0_sel:BYTE_3 src1_sel:DWORD
	v_and_b32_e32 v16, 0x7f800000, v2
	v_and_b32_e32 v10, 0x7fffff, v2
	v_or_b32_e32 v4, 0x7e, v15
	v_cmp_ne_u64_e32 vcc, s[4:5], v[16:17]
	s_and_saveexec_b64 s[0:1], vcc
	s_xor_b64 s[10:11], exec, s[0:1]
	s_cbranch_execz .LBB17_590
; %bb.581:                              ;   in Loop: Header=BB17_556 Depth=1
	v_and_b32_e32 v16, 0x7fffffff, v2
	v_mov_b32_e32 v17, v11
	v_cmp_gt_u64_e32 vcc, s[6:7], v[16:17]
	s_and_saveexec_b64 s[12:13], vcc
	s_cbranch_execz .LBB17_589
; %bb.582:                              ;   in Loop: Header=BB17_556 Depth=1
	v_cmp_ne_u32_e32 vcc, 0, v2
	v_mov_b32_e32 v4, 0
	s_and_saveexec_b64 s[14:15], vcc
	s_cbranch_execz .LBB17_588
; %bb.583:                              ;   in Loop: Header=BB17_556 Depth=1
	v_bfe_u32 v2, v2, 23, 8
	v_sub_u32_e32 v4, 0x79, v2
	v_cmp_gt_u32_e32 vcc, s22, v2
	v_cndmask_b32_e32 v4, 0, v4, vcc
	v_cmp_eq_u32_e32 vcc, 0, v2
	v_cndmask_b32_e32 v4, v4, v14, vcc
	v_add_u32_e32 v3, 0xffffff81, v2
	v_or_b32_e32 v16, 0x800000, v10
	v_add_u32_e32 v2, 20, v4
	v_cndmask_b32_e32 v17, v3, v1, vcc
	v_cndmask_b32_e32 v10, v16, v10, vcc
	v_lshlrev_b64 v[2:3], v2, -1
	v_not_b32_e32 v2, v2
	v_lshrrev_b64 v[20:21], v4, v[10:11]
	v_not_b32_e32 v3, v3
	v_and_b32_e32 v2, v10, v2
	v_add_u32_e32 v16, 19, v4
	v_lshrrev_b32_e32 v10, 23, v20
	v_and_b32_e32 v3, 0, v3
	v_lshlrev_b64 v[18:19], v16, 1
	v_add3_u32 v16, v4, v17, v10
	v_bfe_u32 v4, v20, 20, 1
	v_add_u32_e32 v4, -1, v4
	v_cmp_eq_u64_e32 vcc, v[2:3], v[18:19]
	v_cndmask_b32_e32 v2, 0, v4, vcc
	v_add_u32_e32 v2, v2, v20
	v_and_b32_e32 v2, 0xfffff, v2
	v_add_co_u32_e32 v2, vcc, v2, v20
	v_add_u32_e32 v10, 6, v16
	v_addc_co_u32_e32 v3, vcc, 0, v21, vcc
	v_cmp_ne_u32_e32 vcc, 0, v10
                                        ; implicit-def: $vgpr4
	s_and_saveexec_b64 s[0:1], vcc
	s_xor_b64 s[0:1], exec, s[0:1]
; %bb.584:                              ;   in Loop: Header=BB17_556 Depth=1
	v_add_u32_e32 v4, 7, v16
	v_cmp_lt_u64_e32 vcc, s[8:9], v[2:3]
	v_cndmask_b32_e32 v4, v10, v4, vcc
	v_cndmask_b32_e64 v10, 0, 1, vcc
	v_lshrrev_b64 v[2:3], v10, v[2:3]
; %bb.585:                              ;   in Loop: Header=BB17_556 Depth=1
	s_andn2_saveexec_b64 s[0:1], s[0:1]
; %bb.586:                              ;   in Loop: Header=BB17_556 Depth=1
	v_bfe_u32 v4, v2, 23, 1
; %bb.587:                              ;   in Loop: Header=BB17_556 Depth=1
	s_or_b64 exec, exec, s[0:1]
	v_lshrrev_b64 v[2:3], 20, v[2:3]
	v_cmp_gt_i32_e32 vcc, 16, v4
	v_cndmask_b32_e32 v3, 0, v3, vcc
	v_cndmask_b32_e32 v2, 7, v2, vcc
	v_cmp_eq_u64_e64 s[0:1], 0, v[2:3]
	v_min_i32_e32 v3, 15, v4
	v_cmp_eq_u32_e32 vcc, 0, v4
	v_lshlrev_b32_e32 v3, 3, v3
	v_and_or_b32 v2, v2, 7, v3
	s_and_b64 s[0:1], vcc, s[0:1]
	v_cndmask_b32_e64 v2, v2, 0, s[0:1]
	v_or_b32_e32 v4, v2, v15
.LBB17_588:                             ;   in Loop: Header=BB17_556 Depth=1
	s_or_b64 exec, exec, s[14:15]
.LBB17_589:                             ;   in Loop: Header=BB17_556 Depth=1
	s_or_b64 exec, exec, s[12:13]
                                        ; implicit-def: $vgpr2
.LBB17_590:                             ;   in Loop: Header=BB17_556 Depth=1
	s_andn2_saveexec_b64 s[0:1], s[10:11]
; %bb.591:                              ;   in Loop: Header=BB17_556 Depth=1
	v_or_b32_sdwa v2, v2, s23 dst_sel:DWORD dst_unused:UNUSED_PAD src0_sel:BYTE_3 src1_sel:DWORD
	v_cmp_eq_u64_e32 vcc, 0, v[10:11]
	v_cndmask_b32_e32 v4, v2, v4, vcc
; %bb.592:                              ;   in Loop: Header=BB17_556 Depth=1
	s_or_b64 exec, exec, s[0:1]
	v_div_scale_f32 v2, s[0:1], s33, s33, v5
	v_rcp_f32_e32 v3, v2
	v_div_scale_f32 v10, vcc, v5, s33, v5
	v_mov_b32_e32 v17, v11
	v_fma_f32 v15, -v2, v3, 1.0
	v_fmac_f32_e32 v3, v15, v3
	v_mul_f32_e32 v15, v10, v3
	v_fma_f32 v16, -v2, v15, v10
	v_fmac_f32_e32 v15, v16, v3
	v_fma_f32 v2, -v2, v15, v10
	v_div_fmas_f32 v2, v2, v3, v15
	v_div_fixup_f32 v3, v2, s33, v5
	v_and_b32_sdwa v5, v3, s21 dst_sel:DWORD dst_unused:UNUSED_PAD src0_sel:BYTE_3 src1_sel:DWORD
	v_and_b32_e32 v16, 0x7f800000, v3
	v_and_b32_e32 v10, 0x7fffff, v3
	v_or_b32_e32 v2, 0x7e, v5
	v_cmp_ne_u64_e32 vcc, s[4:5], v[16:17]
	s_and_saveexec_b64 s[0:1], vcc
	s_xor_b64 s[10:11], exec, s[0:1]
	s_cbranch_execz .LBB17_602
; %bb.593:                              ;   in Loop: Header=BB17_556 Depth=1
	v_and_b32_e32 v16, 0x7fffffff, v3
	v_mov_b32_e32 v17, v11
	v_cmp_gt_u64_e32 vcc, s[6:7], v[16:17]
	s_and_saveexec_b64 s[12:13], vcc
	s_cbranch_execz .LBB17_601
; %bb.594:                              ;   in Loop: Header=BB17_556 Depth=1
	v_cmp_ne_u32_e32 vcc, 0, v3
	v_mov_b32_e32 v2, 0
	s_and_saveexec_b64 s[14:15], vcc
	s_cbranch_execz .LBB17_600
; %bb.595:                              ;   in Loop: Header=BB17_556 Depth=1
	v_bfe_u32 v2, v3, 23, 8
	v_sub_u32_e32 v15, 0x79, v2
	v_cmp_gt_u32_e32 vcc, s22, v2
	v_cndmask_b32_e32 v15, 0, v15, vcc
	v_cmp_eq_u32_e32 vcc, 0, v2
	v_cndmask_b32_e32 v15, v15, v14, vcc
	v_add_u32_e32 v3, 0xffffff81, v2
	v_or_b32_e32 v16, 0x800000, v10
	v_add_u32_e32 v2, 20, v15
	v_cndmask_b32_e32 v17, v3, v1, vcc
	v_cndmask_b32_e32 v10, v16, v10, vcc
	v_lshlrev_b64 v[2:3], v2, -1
	v_not_b32_e32 v2, v2
	v_lshrrev_b64 v[20:21], v15, v[10:11]
	v_not_b32_e32 v3, v3
	v_and_b32_e32 v2, v10, v2
	v_add_u32_e32 v16, 19, v15
	v_lshrrev_b32_e32 v10, 23, v20
	v_and_b32_e32 v3, 0, v3
	v_lshlrev_b64 v[18:19], v16, 1
	v_add3_u32 v16, v15, v17, v10
	v_bfe_u32 v10, v20, 20, 1
	v_add_u32_e32 v10, -1, v10
	v_cmp_eq_u64_e32 vcc, v[2:3], v[18:19]
	v_cndmask_b32_e32 v2, 0, v10, vcc
	v_add_u32_e32 v2, v2, v20
	v_and_b32_e32 v2, 0xfffff, v2
	v_add_co_u32_e32 v2, vcc, v2, v20
	v_add_u32_e32 v15, 6, v16
	v_addc_co_u32_e32 v3, vcc, 0, v21, vcc
	v_cmp_ne_u32_e32 vcc, 0, v15
                                        ; implicit-def: $vgpr10
	s_and_saveexec_b64 s[0:1], vcc
	s_xor_b64 s[0:1], exec, s[0:1]
; %bb.596:                              ;   in Loop: Header=BB17_556 Depth=1
	v_add_u32_e32 v10, 7, v16
	v_cmp_lt_u64_e32 vcc, s[8:9], v[2:3]
	v_cndmask_b32_e32 v10, v15, v10, vcc
	v_cndmask_b32_e64 v15, 0, 1, vcc
	v_lshrrev_b64 v[2:3], v15, v[2:3]
; %bb.597:                              ;   in Loop: Header=BB17_556 Depth=1
	s_andn2_saveexec_b64 s[0:1], s[0:1]
; %bb.598:                              ;   in Loop: Header=BB17_556 Depth=1
	v_bfe_u32 v10, v2, 23, 1
; %bb.599:                              ;   in Loop: Header=BB17_556 Depth=1
	s_or_b64 exec, exec, s[0:1]
	v_lshrrev_b64 v[2:3], 20, v[2:3]
	v_cmp_gt_i32_e32 vcc, 16, v10
	v_cndmask_b32_e32 v3, 0, v3, vcc
	v_cndmask_b32_e32 v2, 7, v2, vcc
	v_cmp_eq_u64_e64 s[0:1], 0, v[2:3]
	v_min_i32_e32 v3, 15, v10
	v_cmp_eq_u32_e32 vcc, 0, v10
	v_lshlrev_b32_e32 v3, 3, v3
	v_and_or_b32 v2, v2, 7, v3
	s_and_b64 s[0:1], vcc, s[0:1]
	v_cndmask_b32_e64 v2, v2, 0, s[0:1]
	v_or_b32_e32 v2, v2, v5
.LBB17_600:                             ;   in Loop: Header=BB17_556 Depth=1
	s_or_b64 exec, exec, s[14:15]
.LBB17_601:                             ;   in Loop: Header=BB17_556 Depth=1
	s_or_b64 exec, exec, s[12:13]
                                        ; implicit-def: $vgpr3
.LBB17_602:                             ;   in Loop: Header=BB17_556 Depth=1
	s_andn2_saveexec_b64 s[0:1], s[10:11]
	s_cbranch_execz .LBB17_555
; %bb.603:                              ;   in Loop: Header=BB17_556 Depth=1
	v_or_b32_sdwa v3, v3, s23 dst_sel:DWORD dst_unused:UNUSED_PAD src0_sel:BYTE_3 src1_sel:DWORD
	v_cmp_eq_u64_e32 vcc, 0, v[10:11]
	v_cndmask_b32_e32 v2, v3, v2, vcc
	s_branch .LBB17_555
.LBB17_604:
	s_endpgm
	.section	.rodata,"a",@progbits
	.p2align	6, 0x0
	.amdhsa_kernel _ZN4vllm30reshape_and_cache_flash_kernelIfhLNS_18Fp8KVCacheDataTypeE1EEEvPKT_S4_PT0_S6_PKlllllliiiPKfSA_
		.amdhsa_group_segment_fixed_size 0
		.amdhsa_private_segment_fixed_size 0
		.amdhsa_kernarg_size 368
		.amdhsa_user_sgpr_count 6
		.amdhsa_user_sgpr_private_segment_buffer 1
		.amdhsa_user_sgpr_dispatch_ptr 0
		.amdhsa_user_sgpr_queue_ptr 0
		.amdhsa_user_sgpr_kernarg_segment_ptr 1
		.amdhsa_user_sgpr_dispatch_id 0
		.amdhsa_user_sgpr_flat_scratch_init 0
		.amdhsa_user_sgpr_kernarg_preload_length 0
		.amdhsa_user_sgpr_kernarg_preload_offset 0
		.amdhsa_user_sgpr_private_segment_size 0
		.amdhsa_uses_dynamic_stack 0
		.amdhsa_system_sgpr_private_segment_wavefront_offset 0
		.amdhsa_system_sgpr_workgroup_id_x 1
		.amdhsa_system_sgpr_workgroup_id_y 0
		.amdhsa_system_sgpr_workgroup_id_z 0
		.amdhsa_system_sgpr_workgroup_info 0
		.amdhsa_system_vgpr_workitem_id 0
		.amdhsa_next_free_vgpr 78
		.amdhsa_next_free_sgpr 96
		.amdhsa_accum_offset 80
		.amdhsa_reserve_vcc 1
		.amdhsa_reserve_flat_scratch 0
		.amdhsa_float_round_mode_32 0
		.amdhsa_float_round_mode_16_64 0
		.amdhsa_float_denorm_mode_32 3
		.amdhsa_float_denorm_mode_16_64 3
		.amdhsa_dx10_clamp 1
		.amdhsa_ieee_mode 1
		.amdhsa_fp16_overflow 0
		.amdhsa_tg_split 0
		.amdhsa_exception_fp_ieee_invalid_op 0
		.amdhsa_exception_fp_denorm_src 0
		.amdhsa_exception_fp_ieee_div_zero 0
		.amdhsa_exception_fp_ieee_overflow 0
		.amdhsa_exception_fp_ieee_underflow 0
		.amdhsa_exception_fp_ieee_inexact 0
		.amdhsa_exception_int_div_zero 0
	.end_amdhsa_kernel
	.section	.text._ZN4vllm30reshape_and_cache_flash_kernelIfhLNS_18Fp8KVCacheDataTypeE1EEEvPKT_S4_PT0_S6_PKlllllliiiPKfSA_,"axG",@progbits,_ZN4vllm30reshape_and_cache_flash_kernelIfhLNS_18Fp8KVCacheDataTypeE1EEEvPKT_S4_PT0_S6_PKlllllliiiPKfSA_,comdat
.Lfunc_end17:
	.size	_ZN4vllm30reshape_and_cache_flash_kernelIfhLNS_18Fp8KVCacheDataTypeE1EEEvPKT_S4_PT0_S6_PKlllllliiiPKfSA_, .Lfunc_end17-_ZN4vllm30reshape_and_cache_flash_kernelIfhLNS_18Fp8KVCacheDataTypeE1EEEvPKT_S4_PT0_S6_PKlllllliiiPKfSA_
                                        ; -- End function
	.section	.AMDGPU.csdata,"",@progbits
; Kernel info:
; codeLenInByte = 30204
; NumSgprs: 100
; NumVgprs: 78
; NumAgprs: 0
; TotalNumVgprs: 78
; ScratchSize: 0
; MemoryBound: 0
; FloatMode: 240
; IeeeMode: 1
; LDSByteSize: 0 bytes/workgroup (compile time only)
; SGPRBlocks: 12
; VGPRBlocks: 9
; NumSGPRsForWavesPerEU: 100
; NumVGPRsForWavesPerEU: 78
; AccumOffset: 80
; Occupancy: 6
; WaveLimiterHint : 0
; COMPUTE_PGM_RSRC2:SCRATCH_EN: 0
; COMPUTE_PGM_RSRC2:USER_SGPR: 6
; COMPUTE_PGM_RSRC2:TRAP_HANDLER: 0
; COMPUTE_PGM_RSRC2:TGID_X_EN: 1
; COMPUTE_PGM_RSRC2:TGID_Y_EN: 0
; COMPUTE_PGM_RSRC2:TGID_Z_EN: 0
; COMPUTE_PGM_RSRC2:TIDIG_COMP_CNT: 0
; COMPUTE_PGM_RSRC3_GFX90A:ACCUM_OFFSET: 19
; COMPUTE_PGM_RSRC3_GFX90A:TG_SPLIT: 0
	.section	.text._ZN4vllm30reshape_and_cache_flash_kernelIthLNS_18Fp8KVCacheDataTypeE1EEEvPKT_S4_PT0_S6_PKlllllliiiPKfSA_,"axG",@progbits,_ZN4vllm30reshape_and_cache_flash_kernelIthLNS_18Fp8KVCacheDataTypeE1EEEvPKT_S4_PT0_S6_PKlllllliiiPKfSA_,comdat
	.protected	_ZN4vllm30reshape_and_cache_flash_kernelIthLNS_18Fp8KVCacheDataTypeE1EEEvPKT_S4_PT0_S6_PKlllllliiiPKfSA_ ; -- Begin function _ZN4vllm30reshape_and_cache_flash_kernelIthLNS_18Fp8KVCacheDataTypeE1EEEvPKT_S4_PT0_S6_PKlllllliiiPKfSA_
	.globl	_ZN4vllm30reshape_and_cache_flash_kernelIthLNS_18Fp8KVCacheDataTypeE1EEEvPKT_S4_PT0_S6_PKlllllliiiPKfSA_
	.p2align	8
	.type	_ZN4vllm30reshape_and_cache_flash_kernelIthLNS_18Fp8KVCacheDataTypeE1EEEvPKT_S4_PT0_S6_PKlllllliiiPKfSA_,@function
_ZN4vllm30reshape_and_cache_flash_kernelIthLNS_18Fp8KVCacheDataTypeE1EEEvPKT_S4_PT0_S6_PKlllllliiiPKfSA_: ; @_ZN4vllm30reshape_and_cache_flash_kernelIthLNS_18Fp8KVCacheDataTypeE1EEEvPKT_S4_PT0_S6_PKlllllliiiPKfSA_
; %bb.0:
	s_load_dwordx2 s[0:1], s[4:5], 0x20
	s_mov_b32 s7, 0
	s_lshl_b64 s[2:3], s[6:7], 3
	s_waitcnt lgkmcnt(0)
	s_add_u32 s0, s0, s2
	s_addc_u32 s1, s1, s3
	s_load_dwordx2 s[8:9], s[0:1], 0x0
	s_waitcnt lgkmcnt(0)
	v_cmp_lt_i64_e64 s[0:1], s[8:9], 0
	s_and_b64 vcc, exec, s[0:1]
	s_cbranch_vccnz .LBB18_1244
; %bb.1:
	s_load_dwordx4 s[56:59], s[4:5], 0x50
	s_load_dwordx8 s[60:67], s[4:5], 0x0
	s_waitcnt lgkmcnt(0)
	s_ashr_i32 s59, s58, 31
	s_or_b64 s[0:1], s[8:9], s[58:59]
	s_mov_b32 s0, s7
	s_cmp_lg_u64 s[0:1], 0
	s_cbranch_scc0 .LBB18_646
; %bb.2:
	s_add_u32 s0, s58, s59
	s_mov_b32 s10, s59
	s_mov_b32 s11, s59
	s_addc_u32 s1, s59, s59
	s_xor_b64 s[12:13], s[0:1], s[10:11]
	v_cvt_f32_u32_e32 v1, s12
	v_cvt_f32_u32_e32 v2, s13
	s_sub_u32 s0, 0, s12
	s_subb_u32 s1, 0, s13
	v_madmk_f32 v1, v2, 0x4f800000, v1
	v_rcp_f32_e32 v1, v1
	v_mul_f32_e32 v1, 0x5f7ffffc, v1
	v_mul_f32_e32 v2, 0x2f800000, v1
	v_trunc_f32_e32 v2, v2
	v_madmk_f32 v1, v2, 0xcf800000, v1
	v_cvt_u32_f32_e32 v2, v2
	v_cvt_u32_f32_e32 v1, v1
	v_readfirstlane_b32 s7, v2
	v_readfirstlane_b32 s14, v1
	s_mul_i32 s15, s0, s7
	s_mul_hi_u32 s17, s0, s14
	s_mul_i32 s16, s1, s14
	s_add_i32 s15, s17, s15
	s_add_i32 s15, s15, s16
	s_mul_i32 s18, s0, s14
	s_mul_hi_u32 s16, s14, s15
	s_mul_i32 s17, s14, s15
	s_mul_hi_u32 s14, s14, s18
	s_add_u32 s14, s14, s17
	s_addc_u32 s16, 0, s16
	s_mul_hi_u32 s19, s7, s18
	s_mul_i32 s18, s7, s18
	s_add_u32 s14, s14, s18
	s_mul_hi_u32 s17, s7, s15
	s_addc_u32 s14, s16, s19
	s_addc_u32 s16, s17, 0
	s_mul_i32 s15, s7, s15
	s_add_u32 s14, s14, s15
	s_addc_u32 s15, 0, s16
	v_add_co_u32_e32 v1, vcc, s14, v1
	s_cmp_lg_u64 vcc, 0
	s_addc_u32 s7, s7, s15
	v_readfirstlane_b32 s15, v1
	s_mul_i32 s14, s0, s7
	s_mul_hi_u32 s16, s0, s15
	s_add_i32 s14, s16, s14
	s_mul_i32 s1, s1, s15
	s_add_i32 s14, s14, s1
	s_mul_i32 s0, s0, s15
	s_mul_hi_u32 s16, s7, s0
	s_mul_i32 s17, s7, s0
	s_mul_i32 s19, s15, s14
	s_mul_hi_u32 s0, s15, s0
	s_mul_hi_u32 s18, s15, s14
	s_add_u32 s0, s0, s19
	s_addc_u32 s15, 0, s18
	s_add_u32 s0, s0, s17
	s_mul_hi_u32 s1, s7, s14
	s_addc_u32 s0, s15, s16
	s_addc_u32 s1, s1, 0
	s_mul_i32 s14, s7, s14
	s_add_u32 s0, s0, s14
	s_addc_u32 s1, 0, s1
	v_add_co_u32_e32 v1, vcc, s0, v1
	s_cmp_lg_u64 vcc, 0
	s_addc_u32 s7, s7, s1
	s_ashr_i32 s14, s9, 31
	s_add_u32 s0, s8, s14
	s_mov_b32 s15, s14
	s_addc_u32 s1, s9, s14
	s_xor_b64 s[16:17], s[0:1], s[14:15]
	v_readfirstlane_b32 s18, v1
	s_mul_i32 s1, s16, s7
	s_mul_hi_u32 s19, s16, s18
	s_mul_hi_u32 s0, s16, s7
	s_add_u32 s1, s19, s1
	s_addc_u32 s0, 0, s0
	s_mul_hi_u32 s20, s17, s18
	s_mul_i32 s18, s17, s18
	s_add_u32 s1, s1, s18
	s_mul_hi_u32 s19, s17, s7
	s_addc_u32 s0, s0, s20
	s_addc_u32 s1, s19, 0
	s_mul_i32 s7, s17, s7
	s_add_u32 s7, s0, s7
	s_addc_u32 s18, 0, s1
	s_mul_i32 s0, s12, s18
	s_mul_hi_u32 s1, s12, s7
	s_add_i32 s0, s1, s0
	s_mul_i32 s1, s13, s7
	s_add_i32 s19, s0, s1
	s_mul_i32 s1, s12, s7
	v_mov_b32_e32 v1, s1
	s_sub_i32 s0, s17, s19
	v_sub_co_u32_e32 v1, vcc, s16, v1
	s_cmp_lg_u64 vcc, 0
	s_subb_u32 s16, s0, s13
	v_subrev_co_u32_e64 v2, s[0:1], s12, v1
	s_cmp_lg_u64 s[0:1], 0
	s_subb_u32 s0, s16, 0
	s_cmp_ge_u32 s0, s13
	v_readfirstlane_b32 s16, v2
	s_cselect_b32 s1, -1, 0
	s_cmp_ge_u32 s16, s12
	s_cselect_b32 s16, -1, 0
	s_cmp_eq_u32 s0, s13
	s_cselect_b32 s0, s16, s1
	s_add_u32 s1, s7, 1
	s_addc_u32 s16, s18, 0
	s_add_u32 s20, s7, 2
	s_addc_u32 s21, s18, 0
	s_cmp_lg_u32 s0, 0
	s_cselect_b32 s0, s20, s1
	s_cselect_b32 s1, s21, s16
	s_cmp_lg_u64 vcc, 0
	s_subb_u32 s16, s17, s19
	s_cmp_ge_u32 s16, s13
	v_readfirstlane_b32 s19, v1
	s_cselect_b32 s17, -1, 0
	s_cmp_ge_u32 s19, s12
	s_cselect_b32 s12, -1, 0
	s_cmp_eq_u32 s16, s13
	s_cselect_b32 s12, s12, s17
	s_cmp_lg_u32 s12, 0
	s_cselect_b32 s1, s1, s18
	s_cselect_b32 s0, s0, s7
	s_xor_b64 s[10:11], s[14:15], s[10:11]
	s_xor_b64 s[0:1], s[0:1], s[10:11]
	s_sub_u32 s10, s0, s10
	s_subb_u32 s11, s1, s11
	s_cbranch_execnz .LBB18_4
.LBB18_3:
	v_cvt_f32_u32_e32 v1, s58
	s_sub_i32 s0, 0, s58
	s_mov_b32 s11, 0
	v_rcp_iflag_f32_e32 v1, v1
	v_mul_f32_e32 v1, 0x4f7ffffe, v1
	v_cvt_u32_f32_e32 v1, v1
	v_readfirstlane_b32 s1, v1
	s_mul_i32 s0, s0, s1
	s_mul_hi_u32 s0, s1, s0
	s_add_i32 s1, s1, s0
	s_mul_hi_u32 s0, s8, s1
	s_mul_i32 s2, s0, s58
	s_sub_i32 s2, s8, s2
	s_add_i32 s1, s0, 1
	s_sub_i32 s3, s2, s58
	s_cmp_ge_u32 s2, s58
	s_cselect_b32 s0, s1, s0
	s_cselect_b32 s2, s3, s2
	s_add_i32 s1, s0, 1
	s_cmp_ge_u32 s2, s58
	s_cselect_b32 s10, s1, s0
.LBB18_4:
	s_mul_i32 s7, s10, s59
	s_mul_hi_u32 s14, s10, s58
	s_load_dwordx8 s[48:55], s[4:5], 0x28
	s_load_dwordx2 s[12:13], s[4:5], 0x48
	s_load_dwordx4 s[0:3], s[4:5], 0x60
	s_add_i32 s7, s14, s7
	s_mul_i32 s14, s11, s58
	s_add_i32 s7, s7, s14
	s_mul_i32 s14, s10, s58
	s_sub_u32 s14, s8, s14
	s_subb_u32 s15, s9, s7
	s_waitcnt lgkmcnt(0)
	s_mul_i32 s7, s6, s55
	s_mul_hi_u32 s8, s6, s54
	s_add_i32 s9, s8, s7
	s_mul_i32 s8, s6, s54
	s_lshl_b64 s[34:35], s[8:9], 1
	s_add_u32 s80, s60, s34
	s_addc_u32 s7, s61, s35
                                        ; implicit-def: $vgpr99 : SGPR spill to VGPR lane
	s_mul_hi_u32 s8, s6, s12
	v_writelane_b32 v99, s7, 0
	s_mul_i32 s7, s6, s13
	s_add_i32 s7, s8, s7
	s_mul_i32 s6, s6, s12
	s_lshl_b64 s[88:89], s[6:7], 1
	s_add_u32 s91, s62, s88
	s_mul_i32 s6, s10, s49
	s_mul_hi_u32 s7, s10, s48
	s_addc_u32 s92, s63, s89
	s_add_i32 s6, s7, s6
	s_mul_i32 s7, s11, s48
	s_add_i32 s87, s6, s7
	s_mul_i32 s90, s10, s48
	s_add_u32 s6, s64, s90
	s_mul_i32 s8, s14, s51
	s_mul_hi_u32 s9, s14, s50
	s_addc_u32 s7, s65, s87
	s_add_i32 s8, s9, s8
	s_mul_i32 s15, s15, s50
	s_add_i32 s58, s8, s15
	s_mul_i32 s59, s14, s50
	s_add_u32 s43, s6, s59
	s_addc_u32 s55, s7, s58
	s_add_u32 s6, s66, s90
	s_addc_u32 s7, s67, s87
	s_add_u32 s93, s6, s59
	s_load_dword s6, s[4:5], 0x7c
	s_load_dword s95, s[0:1], 0x0
	;; [unrolled: 1-line block ×3, first 2 shown]
	s_addc_u32 s94, s7, s58
	s_ashr_i32 s5, s57, 31
	s_mov_b32 s4, s57
	s_waitcnt lgkmcnt(0)
	s_and_b32 s86, s6, 0xffff
	s_cmp_lg_u64 s[4:5], s[52:53]
	s_mov_b64 s[0:1], -1
	s_cbranch_scc0 .LBB18_625
; %bb.5:
	v_writelane_b32 v99, s34, 11
	v_writelane_b32 v99, s35, 12
	;; [unrolled: 1-line block ×15, first 2 shown]
	v_lshrrev_b32_e32 v17, 5, v0
	v_writelane_b32 v99, s67, 10
	v_cmp_gt_i32_e32 vcc, s56, v17
	s_mov_b64 s[0:1], exec
	v_writelane_b32 v99, s0, 19
	v_writelane_b32 v99, s1, 20
	s_and_b64 s[0:1], s[0:1], vcc
	s_mov_b64 exec, s[0:1]
	s_cbranch_execz .LBB18_624
; %bb.6:
	s_lshr_b32 s84, s86, 5
	s_and_b32 s0, s57, 7
	s_cmp_eq_u32 s0, 0
	s_cselect_b64 s[2:3], -1, 0
	s_ashr_i32 s85, s57, 3
	v_readlane_b32 s4, v99, 15
	v_readlane_b32 s5, v99, 13
	s_add_u32 s4, s5, s4
	v_readlane_b32 s5, v99, 16
	v_readlane_b32 s6, v99, 14
	s_addc_u32 s5, s6, s5
	v_pk_mov_b32 v[2:3], s[4:5], s[4:5] op_sel:[0,1]
	v_mad_u64_u32 v[2:3], s[4:5], s52, v17, v[2:3]
	v_and_b32_e32 v8, 31, v0
	v_mov_b32_e32 v4, v3
	v_mad_u64_u32 v[4:5], s[4:5], s53, v17, v[4:5]
	v_lshlrev_b32_e32 v1, 3, v8
	v_mov_b32_e32 v3, v4
	v_add_co_u32_e32 v4, vcc, v2, v1
	v_readlane_b32 s8, v99, 3
	s_mul_i32 s4, s53, s84
	s_mul_hi_u32 s5, s52, s84
	v_addc_co_u32_e32 v5, vcc, 0, v3, vcc
	v_readlane_b32 s12, v99, 7
	v_readlane_b32 s13, v99, 8
	s_add_i32 s89, s5, s4
	v_readlane_b32 s4, v99, 11
	v_readlane_b32 s9, v99, 4
	v_mov_b32_e32 v1, s13
	v_add_co_u32_e32 v12, vcc, s12, v4
	v_readlane_b32 s5, v99, 12
	s_add_u32 s4, s8, s4
	v_addc_co_u32_e32 v13, vcc, v1, v5, vcc
	v_lshlrev_b32_e32 v6, 4, v8
	s_addc_u32 s5, s9, s5
	v_mov_b32_e32 v7, s5
	v_add_co_u32_e32 v83, vcc, s4, v6
	v_readlane_b32 s10, v99, 5
	v_readlane_b32 s11, v99, 6
	;; [unrolled: 1-line block ×4, first 2 shown]
	v_writelane_b32 v99, s5, 21
	v_addc_co_u32_e32 v84, vcc, 0, v7, vcc
	v_writelane_b32 v99, s4, 22
	v_add_co_u32_e32 v16, vcc, s12, v2
	v_addc_co_u32_e32 v1, vcc, v1, v3, vcc
	v_readlane_b32 s4, v99, 17
	v_mov_b32_e32 v7, s15
	v_add_co_u32_e32 v18, vcc, s14, v4
	v_readlane_b32 s5, v99, 18
	s_add_u32 s4, s10, s4
	v_addc_co_u32_e32 v19, vcc, v7, v5, vcc
	s_addc_u32 s5, s11, s5
	v_writelane_b32 v99, s5, 23
	v_mov_b32_e32 v4, s5
	v_add_co_u32_e32 v85, vcc, s4, v6
	v_writelane_b32 v99, s4, 24
	v_addc_co_u32_e32 v86, vcc, 0, v4, vcc
	v_add_co_u32_e32 v20, vcc, s14, v2
	v_readlane_b32 s4, v99, 0
	v_cmp_gt_i32_e64 s[0:1], s85, v8
	v_mov_b32_e32 v11, 0
	v_not_b32_e32 v21, v8
	v_or_b32_e32 v82, 32, v8
	s_mov_b32 s81, s95
	s_mov_b32 s88, s95
	;; [unrolled: 1-line block ×6, first 2 shown]
	s_mul_i32 s54, s52, s84
	v_mul_lo_u32 v14, s57, v17
	s_mul_i32 s20, s57, s84
	v_addc_co_u32_e32 v9, vcc, v7, v3, vcc
	s_mov_b64 s[50:51], 0
	v_mov_b32_e32 v87, s4
	s_xor_b64 s[60:61], s[2:3], -1
	s_movk_i32 s58, 0x80
	s_mov_b64 s[62:63], 0x7f800000
	s_mov_b64 s[64:65], 0x43e00001
	s_movk_i32 s59, 0x7a
	s_mov_b64 s[66:67], 0xffffff
	s_movk_i32 s40, 0x7f
	s_mov_b32 s41, 0xff00
	s_mov_b32 s42, 0x4020c0c
	s_movk_i32 s21, 0x5f
	s_mov_b64 s[68:69], 0x43e00000
	v_mov_b32_e32 v88, 0xffffff82
	v_mov_b32_e32 v89, 0x78
	v_writelane_b32 v99, s92, 25
	v_writelane_b32 v99, s93, 26
	s_branch .LBB18_9
.LBB18_7:                               ;   in Loop: Header=BB18_9 Depth=1
	s_or_b64 exec, exec, s[6:7]
.LBB18_8:                               ;   in Loop: Header=BB18_9 Depth=1
	s_or_b64 exec, exec, s[4:5]
	v_mov_b32_e32 v2, s89
	v_add_co_u32_e32 v12, vcc, s54, v12
	v_addc_co_u32_e32 v13, vcc, v13, v2, vcc
	v_add_co_u32_e32 v16, vcc, s54, v16
	v_addc_co_u32_e32 v1, vcc, v1, v2, vcc
	v_add_co_u32_e32 v18, vcc, s54, v18
	v_add_u32_e32 v17, s84, v17
	v_addc_co_u32_e32 v19, vcc, v19, v2, vcc
	v_cmp_le_i32_e32 vcc, s56, v17
	s_or_b64 s[50:51], vcc, s[50:51]
	v_add_co_u32_e32 v20, vcc, s54, v20
	v_add_u32_e32 v14, s20, v14
	v_addc_co_u32_e32 v9, vcc, v9, v2, vcc
	s_andn2_b64 exec, exec, s[50:51]
	s_cbranch_execz .LBB18_624
.LBB18_9:                               ; =>This Loop Header: Depth=1
                                        ;     Child Loop BB18_31 Depth 2
                                        ;     Child Loop BB18_162 Depth 2
	;; [unrolled: 1-line block ×8, first 2 shown]
	v_mul_lo_u32 v2, v17, s57
	v_ashrrev_i32_e32 v3, 31, v2
	v_lshlrev_b64 v[26:27], 1, v[2:3]
	v_add_co_u32_e32 v50, vcc, s80, v26
	v_mad_u64_u32 v[24:25], s[2:3], v17, s52, 0
	v_addc_co_u32_e32 v51, vcc, v87, v27, vcc
	v_mov_b32_e32 v2, v25
	v_and_b32_e32 v10, 15, v50
	v_ashrrev_i32_e32 v15, 31, v14
	v_mad_u64_u32 v[2:3], s[2:3], v17, s53, v[2:3]
	v_cmp_ne_u64_e32 vcc, 0, v[10:11]
	v_lshlrev_b64 v[22:23], 1, v[14:15]
	v_mov_b32_e32 v15, v2
	s_or_b64 s[2:3], s[60:61], vcc
	s_and_saveexec_b64 s[4:5], s[2:3]
	s_xor_b64 s[70:71], exec, s[4:5]
	s_cbranch_execz .LBB18_184
; %bb.10:                               ;   in Loop: Header=BB18_9 Depth=1
	v_mov_b32_e32 v2, s55
	v_add_co_u32_e32 v52, vcc, s43, v24
	v_addc_co_u32_e32 v53, vcc, v2, v15, vcc
	v_sub_u32_e32 v2, 0, v50
	v_bfe_u32 v2, v2, 1, 3
	v_min_i32_e32 v28, s57, v2
	v_cmp_gt_i32_e32 vcc, v28, v8
	s_and_saveexec_b64 s[4:5], vcc
	s_cbranch_execz .LBB18_28
; %bb.11:                               ;   in Loop: Header=BB18_9 Depth=1
	v_lshlrev_b32_e32 v2, 1, v8
	v_add_co_u32_e32 v2, vcc, v50, v2
	v_addc_co_u32_e32 v3, vcc, 0, v51, vcc
	global_load_ushort v2, v[2:3], off
	s_waitcnt vmcnt(0)
	v_cvt_f32_f16_e32 v2, v2
	v_div_scale_f32 v3, s[2:3], s95, s95, v2
	v_rcp_f32_e32 v4, v3
	v_div_scale_f32 v5, vcc, v2, s95, v2
	v_fma_f32 v6, -v3, v4, 1.0
	v_fmac_f32_e32 v4, v6, v4
	v_mul_f32_e32 v6, v5, v4
	v_fma_f32 v7, -v3, v6, v5
	v_fmac_f32_e32 v6, v7, v4
	v_fma_f32 v3, -v3, v6, v5
	v_div_fmas_f32 v3, v3, v4, v6
	v_div_fixup_f32 v2, v3, s95, v2
	v_cvt_f16_f32_e32 v2, v2
	v_mov_b32_e32 v7, v11
	v_cvt_f32_f16_e32 v2, v2
	v_and_b32_sdwa v4, v2, s58 dst_sel:DWORD dst_unused:UNUSED_PAD src0_sel:BYTE_3 src1_sel:DWORD
	v_and_b32_e32 v6, 0x7f800000, v2
	v_and_b32_e32 v10, 0x7fffff, v2
	v_or_b32_e32 v3, 0x7e, v4
	v_cmp_ne_u64_e32 vcc, s[62:63], v[6:7]
	s_and_saveexec_b64 s[2:3], vcc
	s_xor_b64 s[6:7], exec, s[2:3]
	s_cbranch_execz .LBB18_25
; %bb.12:                               ;   in Loop: Header=BB18_9 Depth=1
	v_and_b32_e32 v6, 0x7fffffff, v2
	v_mov_b32_e32 v7, v11
	v_cmp_gt_u64_e32 vcc, s[64:65], v[6:7]
	s_and_saveexec_b64 s[2:3], vcc
	s_xor_b64 s[8:9], exec, s[2:3]
	s_cbranch_execz .LBB18_24
; %bb.13:                               ;   in Loop: Header=BB18_9 Depth=1
	v_cmp_ne_u32_e32 vcc, 0, v2
	v_mov_b32_e32 v3, 0
	s_and_saveexec_b64 s[10:11], vcc
	s_cbranch_execz .LBB18_23
; %bb.14:                               ;   in Loop: Header=BB18_9 Depth=1
	v_bfe_u32 v2, v2, 23, 8
	v_sub_u32_e32 v5, 0x79, v2
	v_cmp_gt_u32_e32 vcc, s59, v2
	v_cndmask_b32_e32 v5, 0, v5, vcc
	v_cmp_eq_u32_e32 vcc, 0, v2
	v_or_b32_e32 v6, 0x800000, v10
	v_cndmask_b32_e32 v5, v5, v89, vcc
	v_add_u32_e32 v3, 0xffffff81, v2
	v_cndmask_b32_e32 v10, v6, v10, vcc
	v_add_u32_e32 v2, 20, v5
	v_cndmask_b32_e32 v7, v3, v88, vcc
	v_lshlrev_b64 v[2:3], v2, -1
	v_add_u32_e32 v6, 19, v5
	v_lshrrev_b64 v[32:33], v5, v[10:11]
	v_not_b32_e32 v3, v3
	v_not_b32_e32 v2, v2
	v_lshlrev_b64 v[30:31], v6, 1
	v_lshrrev_b32_e32 v6, 23, v32
	v_and_b32_e32 v3, 0, v3
	v_and_b32_e32 v2, v10, v2
	v_add3_u32 v7, v5, v7, v6
	v_bfe_u32 v5, v32, 20, 1
	v_add_u32_e32 v5, -1, v5
	v_cmp_eq_u64_e32 vcc, v[2:3], v[30:31]
	v_cndmask_b32_e32 v2, 0, v5, vcc
	v_add_u32_e32 v2, v2, v32
	v_and_b32_e32 v2, 0xfffff, v2
	v_add_co_u32_e32 v2, vcc, v2, v32
	v_add_u32_e32 v6, 6, v7
	v_addc_co_u32_e32 v3, vcc, 0, v33, vcc
	v_cmp_ne_u32_e32 vcc, 0, v6
                                        ; implicit-def: $vgpr5
	s_and_saveexec_b64 s[2:3], vcc
	s_xor_b64 s[2:3], exec, s[2:3]
; %bb.15:                               ;   in Loop: Header=BB18_9 Depth=1
	v_add_u32_e32 v5, 7, v7
	v_cmp_lt_u64_e32 vcc, s[66:67], v[2:3]
	v_cndmask_b32_e32 v5, v6, v5, vcc
	v_cndmask_b32_e64 v6, 0, 1, vcc
	v_lshrrev_b64 v[2:3], v6, v[2:3]
; %bb.16:                               ;   in Loop: Header=BB18_9 Depth=1
	s_andn2_saveexec_b64 s[2:3], s[2:3]
; %bb.17:                               ;   in Loop: Header=BB18_9 Depth=1
	v_bfe_u32 v5, v2, 23, 1
; %bb.18:                               ;   in Loop: Header=BB18_9 Depth=1
	s_or_b64 exec, exec, s[2:3]
	v_lshrrev_b64 v[2:3], 20, v[2:3]
	v_cmp_gt_i32_e32 vcc, 16, v5
	v_cndmask_b32_e32 v3, 0, v3, vcc
	v_cndmask_b32_e32 v2, 7, v2, vcc
	v_cmp_ne_u32_e32 vcc, 0, v5
	v_cmp_ne_u64_e64 s[2:3], 0, v[2:3]
	s_or_b64 s[2:3], vcc, s[2:3]
                                        ; implicit-def: $vgpr3
	s_and_saveexec_b64 s[12:13], s[2:3]
	s_xor_b64 s[2:3], exec, s[12:13]
; %bb.19:                               ;   in Loop: Header=BB18_9 Depth=1
	v_min_i32_e32 v3, 15, v5
	v_lshl_or_b32 v3, v3, 3, v4
	v_and_or_b32 v3, v2, 7, v3
                                        ; implicit-def: $vgpr4
; %bb.20:                               ;   in Loop: Header=BB18_9 Depth=1
	s_andn2_saveexec_b64 s[2:3], s[2:3]
; %bb.21:                               ;   in Loop: Header=BB18_9 Depth=1
	v_mov_b32_e32 v3, v4
; %bb.22:                               ;   in Loop: Header=BB18_9 Depth=1
	s_or_b64 exec, exec, s[2:3]
.LBB18_23:                              ;   in Loop: Header=BB18_9 Depth=1
	s_or_b64 exec, exec, s[10:11]
.LBB18_24:                              ;   in Loop: Header=BB18_9 Depth=1
	s_andn2_saveexec_b64 s[2:3], s[8:9]
	s_or_b64 exec, exec, s[2:3]
                                        ; implicit-def: $vgpr2
.LBB18_25:                              ;   in Loop: Header=BB18_9 Depth=1
	s_andn2_saveexec_b64 s[2:3], s[6:7]
; %bb.26:                               ;   in Loop: Header=BB18_9 Depth=1
	v_or_b32_sdwa v2, v2, s40 dst_sel:DWORD dst_unused:UNUSED_PAD src0_sel:BYTE_3 src1_sel:DWORD
	v_cmp_eq_u64_e32 vcc, 0, v[10:11]
	v_cndmask_b32_e32 v3, v2, v3, vcc
; %bb.27:                               ;   in Loop: Header=BB18_9 Depth=1
	s_or_b64 exec, exec, s[2:3]
	v_add_co_u32_e32 v4, vcc, v52, v8
	v_addc_co_u32_e32 v5, vcc, 0, v53, vcc
	global_store_byte v[4:5], v3, off
.LBB18_28:                              ;   in Loop: Header=BB18_9 Depth=1
	s_or_b64 exec, exec, s[4:5]
	v_sub_u32_e32 v25, s57, v28
	v_ashrrev_i32_e32 v2, 31, v25
	v_lshrrev_b32_e32 v2, 29, v2
	v_add_u32_e32 v2, v25, v2
	v_ashrrev_i32_e32 v29, 31, v28
	v_ashrrev_i32_e32 v54, 3, v2
	v_cmp_gt_i32_e32 vcc, v54, v8
	v_lshlrev_b64 v[30:31], 1, v[28:29]
	s_and_saveexec_b64 s[4:5], vcc
	s_cbranch_execz .LBB18_159
; %bb.29:                               ;   in Loop: Header=BB18_9 Depth=1
	v_add_co_u32_e32 v6, vcc, v12, v28
	v_addc_co_u32_e32 v7, vcc, v13, v29, vcc
	v_add_co_u32_e32 v2, vcc, v30, v22
	v_addc_co_u32_e32 v3, vcc, v31, v23, vcc
	;; [unrolled: 2-line block ×3, first 2 shown]
	s_mov_b64 s[6:7], 0
	v_mov_b32_e32 v55, v8
	s_branch .LBB18_31
.LBB18_30:                              ;   in Loop: Header=BB18_31 Depth=2
	s_or_b64 exec, exec, s[2:3]
	v_lshlrev_b32_e32 v4, 16, v44
	v_lshlrev_b32_e32 v3, 24, v46
	v_and_b32_e32 v4, 0xff0000, v4
	v_or_b32_e32 v3, v3, v4
	v_lshlrev_b32_e32 v4, 8, v42
	v_and_b32_e32 v4, 0xff00, v4
	v_and_b32_e32 v5, 0xff, v40
	v_or3_b32 v3, v3, v4, v5
	v_lshlrev_b32_e32 v4, 16, v38
	v_lshlrev_b32_e32 v5, 8, v36
	v_perm_b32 v2, v2, v4, s42
	v_and_or_b32 v2, v5, s41, v2
	v_or_b32_sdwa v2, v2, v34 dst_sel:DWORD dst_unused:UNUSED_PAD src0_sel:DWORD src1_sel:BYTE_0
	global_store_dwordx2 v[6:7], v[2:3], off
	v_add_co_u32_e32 v6, vcc, 0x100, v6
	v_add_u32_e32 v55, 32, v55
	v_addc_co_u32_e32 v7, vcc, 0, v7, vcc
	v_add_co_u32_e32 v32, vcc, 0x200, v32
	v_cmp_ge_i32_e64 s[2:3], v55, v54
	s_or_b64 s[6:7], s[2:3], s[6:7]
	v_addc_co_u32_e32 v33, vcc, 0, v33, vcc
	s_andn2_b64 exec, exec, s[6:7]
	s_cbranch_execz .LBB18_159
.LBB18_31:                              ;   Parent Loop BB18_9 Depth=1
                                        ; =>  This Inner Loop Header: Depth=2
	global_load_dwordx4 v[2:5], v[32:33], off
	v_mov_b32_e32 v39, v11
	s_waitcnt vmcnt(0)
	v_cvt_f32_f16_e32 v10, v2
	v_div_scale_f32 v34, s[2:3], s95, s95, v10
	v_rcp_f32_e32 v35, v34
	v_div_scale_f32 v36, vcc, v10, s95, v10
	v_fma_f32 v37, -v34, v35, 1.0
	v_fmac_f32_e32 v35, v37, v35
	v_mul_f32_e32 v37, v36, v35
	v_fma_f32 v38, -v34, v37, v36
	v_fmac_f32_e32 v37, v38, v35
	v_fma_f32 v34, -v34, v37, v36
	v_div_fmas_f32 v34, v34, v35, v37
	v_div_fixup_f32 v10, v34, s95, v10
	v_cvt_f16_f32_e32 v10, v10
	v_cvt_f32_f16_e32 v37, v10
	v_and_b32_sdwa v36, v37, s58 dst_sel:DWORD dst_unused:UNUSED_PAD src0_sel:BYTE_3 src1_sel:DWORD
	v_and_b32_e32 v38, 0x7f800000, v37
	v_and_b32_e32 v10, 0x7fffff, v37
	v_or_b32_e32 v34, 0x7e, v36
	v_cmp_ne_u64_e32 vcc, s[62:63], v[38:39]
	s_and_saveexec_b64 s[2:3], vcc
	s_xor_b64 s[8:9], exec, s[2:3]
	s_cbranch_execz .LBB18_45
; %bb.32:                               ;   in Loop: Header=BB18_31 Depth=2
	v_and_b32_e32 v38, 0x7fffffff, v37
	v_mov_b32_e32 v39, v11
	v_cmp_gt_u64_e32 vcc, s[64:65], v[38:39]
	s_and_saveexec_b64 s[2:3], vcc
	s_xor_b64 s[10:11], exec, s[2:3]
	s_cbranch_execz .LBB18_44
; %bb.33:                               ;   in Loop: Header=BB18_31 Depth=2
	v_cmp_ne_u32_e32 vcc, 0, v37
	v_pk_mov_b32 v[34:35], 0, 0
	s_and_saveexec_b64 s[12:13], vcc
	s_cbranch_execz .LBB18_43
; %bb.34:                               ;   in Loop: Header=BB18_31 Depth=2
	v_bfe_u32 v34, v37, 23, 8
	v_sub_u32_e32 v37, 0x79, v34
	v_cmp_gt_u32_e32 vcc, s59, v34
	v_cndmask_b32_e32 v37, 0, v37, vcc
	v_cmp_eq_u32_e32 vcc, 0, v34
	v_cndmask_b32_e32 v37, v37, v89, vcc
	v_add_u32_e32 v35, 0xffffff81, v34
	v_or_b32_e32 v38, 0x800000, v10
	v_add_u32_e32 v34, 20, v37
	v_cndmask_b32_e32 v39, v35, v88, vcc
	v_cndmask_b32_e32 v10, v38, v10, vcc
	v_lshlrev_b64 v[34:35], v34, -1
	v_not_b32_e32 v34, v34
	v_lshrrev_b64 v[42:43], v37, v[10:11]
	v_not_b32_e32 v35, v35
	v_and_b32_e32 v34, v10, v34
	v_add_u32_e32 v38, 19, v37
	v_lshrrev_b32_e32 v10, 23, v42
	v_and_b32_e32 v35, 0, v35
	v_lshlrev_b64 v[40:41], v38, 1
	v_add3_u32 v38, v37, v39, v10
	v_bfe_u32 v10, v42, 20, 1
	v_add_u32_e32 v10, -1, v10
	v_cmp_eq_u64_e32 vcc, v[34:35], v[40:41]
	v_cndmask_b32_e32 v10, 0, v10, vcc
	v_add_u32_e32 v10, v10, v42
	v_and_b32_e32 v10, 0xfffff, v10
	v_add_co_u32_e32 v34, vcc, v10, v42
	v_add_u32_e32 v37, 6, v38
	v_addc_co_u32_e32 v35, vcc, 0, v43, vcc
	v_cmp_ne_u32_e32 vcc, 0, v37
                                        ; implicit-def: $vgpr10
	s_and_saveexec_b64 s[2:3], vcc
	s_xor_b64 s[2:3], exec, s[2:3]
; %bb.35:                               ;   in Loop: Header=BB18_31 Depth=2
	v_add_u32_e32 v10, 7, v38
	v_cmp_lt_u64_e32 vcc, s[66:67], v[34:35]
	v_cndmask_b32_e32 v10, v37, v10, vcc
	v_cndmask_b32_e64 v37, 0, 1, vcc
	v_lshrrev_b64 v[34:35], v37, v[34:35]
; %bb.36:                               ;   in Loop: Header=BB18_31 Depth=2
	s_andn2_saveexec_b64 s[2:3], s[2:3]
; %bb.37:                               ;   in Loop: Header=BB18_31 Depth=2
	v_bfe_u32 v10, v34, 23, 1
; %bb.38:                               ;   in Loop: Header=BB18_31 Depth=2
	s_or_b64 exec, exec, s[2:3]
	v_lshrrev_b64 v[34:35], 20, v[34:35]
	v_cmp_gt_i32_e32 vcc, 16, v10
	v_cndmask_b32_e32 v39, 0, v35, vcc
	v_cndmask_b32_e32 v38, 7, v34, vcc
	v_cmp_ne_u32_e32 vcc, 0, v10
	v_cmp_ne_u64_e64 s[2:3], 0, v[38:39]
	s_or_b64 s[2:3], vcc, s[2:3]
                                        ; implicit-def: $vgpr34_vgpr35
	s_and_saveexec_b64 s[14:15], s[2:3]
	s_xor_b64 s[2:3], exec, s[14:15]
; %bb.39:                               ;   in Loop: Header=BB18_31 Depth=2
	v_min_i32_e32 v10, 15, v10
	v_lshl_or_b32 v10, v10, 3, v36
	v_and_or_b32 v34, v38, 7, v10
                                        ; implicit-def: $vgpr36
; %bb.40:                               ;   in Loop: Header=BB18_31 Depth=2
	s_andn2_saveexec_b64 s[2:3], s[2:3]
; %bb.41:                               ;   in Loop: Header=BB18_31 Depth=2
	v_pk_mov_b32 v[34:35], v[36:37], v[36:37] op_sel:[0,1]
; %bb.42:                               ;   in Loop: Header=BB18_31 Depth=2
	s_or_b64 exec, exec, s[2:3]
.LBB18_43:                              ;   in Loop: Header=BB18_31 Depth=2
	s_or_b64 exec, exec, s[12:13]
.LBB18_44:                              ;   in Loop: Header=BB18_31 Depth=2
	s_andn2_saveexec_b64 s[2:3], s[10:11]
	s_or_b64 exec, exec, s[2:3]
                                        ; implicit-def: $vgpr37
.LBB18_45:                              ;   in Loop: Header=BB18_31 Depth=2
	s_andn2_saveexec_b64 s[2:3], s[8:9]
; %bb.46:                               ;   in Loop: Header=BB18_31 Depth=2
	v_or_b32_sdwa v35, v37, s40 dst_sel:DWORD dst_unused:UNUSED_PAD src0_sel:BYTE_3 src1_sel:DWORD
	v_cmp_eq_u64_e32 vcc, 0, v[10:11]
	v_cndmask_b32_e32 v34, v35, v34, vcc
; %bb.47:                               ;   in Loop: Header=BB18_31 Depth=2
	s_or_b64 exec, exec, s[2:3]
	v_cvt_f32_f16_sdwa v2, v2 dst_sel:DWORD dst_unused:UNUSED_PAD src0_sel:WORD_1
	v_mov_b32_e32 v39, v11
	v_div_scale_f32 v10, s[2:3], s95, s95, v2
	v_rcp_f32_e32 v35, v10
	v_div_scale_f32 v36, vcc, v2, s95, v2
	v_fma_f32 v37, -v10, v35, 1.0
	v_fmac_f32_e32 v35, v37, v35
	v_mul_f32_e32 v37, v36, v35
	v_fma_f32 v38, -v10, v37, v36
	v_fmac_f32_e32 v37, v38, v35
	v_fma_f32 v10, -v10, v37, v36
	v_div_fmas_f32 v10, v10, v35, v37
	v_div_fixup_f32 v2, v10, s95, v2
	v_cvt_f16_f32_e32 v2, v2
	v_cvt_f32_f16_e32 v35, v2
	v_and_b32_sdwa v2, v35, s58 dst_sel:DWORD dst_unused:UNUSED_PAD src0_sel:BYTE_3 src1_sel:DWORD
	v_and_b32_e32 v38, 0x7f800000, v35
	v_and_b32_e32 v10, 0x7fffff, v35
	v_or_b32_e32 v36, 0x7e, v2
	v_cmp_ne_u64_e32 vcc, s[62:63], v[38:39]
	s_and_saveexec_b64 s[2:3], vcc
	s_xor_b64 s[8:9], exec, s[2:3]
	s_cbranch_execz .LBB18_61
; %bb.48:                               ;   in Loop: Header=BB18_31 Depth=2
	v_and_b32_e32 v38, 0x7fffffff, v35
	v_mov_b32_e32 v39, v11
	v_cmp_gt_u64_e32 vcc, s[64:65], v[38:39]
	s_and_saveexec_b64 s[2:3], vcc
	s_xor_b64 s[10:11], exec, s[2:3]
	s_cbranch_execz .LBB18_60
; %bb.49:                               ;   in Loop: Header=BB18_31 Depth=2
	v_cmp_ne_u32_e32 vcc, 0, v35
	v_pk_mov_b32 v[36:37], 0, 0
	s_and_saveexec_b64 s[12:13], vcc
	s_cbranch_execz .LBB18_59
; %bb.50:                               ;   in Loop: Header=BB18_31 Depth=2
	v_bfe_u32 v35, v35, 23, 8
	v_sub_u32_e32 v37, 0x79, v35
	v_cmp_gt_u32_e32 vcc, s59, v35
	v_cndmask_b32_e32 v37, 0, v37, vcc
	v_cmp_eq_u32_e32 vcc, 0, v35
	v_add_u32_e32 v36, 0xffffff81, v35
	v_cndmask_b32_e32 v39, v37, v89, vcc
	v_or_b32_e32 v38, 0x800000, v10
	v_cndmask_b32_e32 v35, v36, v88, vcc
	v_add_u32_e32 v36, 20, v39
	v_cndmask_b32_e32 v10, v38, v10, vcc
	v_lshlrev_b64 v[36:37], v36, -1
	v_not_b32_e32 v36, v36
	v_lshrrev_b64 v[42:43], v39, v[10:11]
	v_not_b32_e32 v37, v37
	v_and_b32_e32 v36, v10, v36
	v_add_u32_e32 v38, 19, v39
	v_lshrrev_b32_e32 v10, 23, v42
	v_and_b32_e32 v37, 0, v37
	v_lshlrev_b64 v[40:41], v38, 1
	v_add3_u32 v38, v39, v35, v10
	v_bfe_u32 v10, v42, 20, 1
	v_add_u32_e32 v10, -1, v10
	v_cmp_eq_u64_e32 vcc, v[36:37], v[40:41]
	v_cndmask_b32_e32 v10, 0, v10, vcc
	v_add_u32_e32 v10, v10, v42
	v_and_b32_e32 v10, 0xfffff, v10
	v_add_co_u32_e32 v36, vcc, v10, v42
	v_add_u32_e32 v35, 6, v38
	v_addc_co_u32_e32 v37, vcc, 0, v43, vcc
	v_cmp_ne_u32_e32 vcc, 0, v35
                                        ; implicit-def: $vgpr10
	s_and_saveexec_b64 s[2:3], vcc
	s_xor_b64 s[2:3], exec, s[2:3]
; %bb.51:                               ;   in Loop: Header=BB18_31 Depth=2
	v_add_u32_e32 v10, 7, v38
	v_cmp_lt_u64_e32 vcc, s[66:67], v[36:37]
	v_cndmask_b32_e32 v10, v35, v10, vcc
	v_cndmask_b32_e64 v35, 0, 1, vcc
	v_lshrrev_b64 v[36:37], v35, v[36:37]
; %bb.52:                               ;   in Loop: Header=BB18_31 Depth=2
	s_andn2_saveexec_b64 s[2:3], s[2:3]
; %bb.53:                               ;   in Loop: Header=BB18_31 Depth=2
	v_bfe_u32 v10, v36, 23, 1
; %bb.54:                               ;   in Loop: Header=BB18_31 Depth=2
	s_or_b64 exec, exec, s[2:3]
	v_lshrrev_b64 v[36:37], 20, v[36:37]
	v_cmp_gt_i32_e32 vcc, 16, v10
	v_cndmask_b32_e32 v39, 0, v37, vcc
	v_cndmask_b32_e32 v38, 7, v36, vcc
	v_cmp_ne_u32_e32 vcc, 0, v10
	v_cmp_ne_u64_e64 s[2:3], 0, v[38:39]
	s_or_b64 s[2:3], vcc, s[2:3]
                                        ; implicit-def: $vgpr36_vgpr37
	s_and_saveexec_b64 s[14:15], s[2:3]
	s_xor_b64 s[2:3], exec, s[14:15]
; %bb.55:                               ;   in Loop: Header=BB18_31 Depth=2
	v_min_i32_e32 v10, 15, v10
	v_lshl_or_b32 v2, v10, 3, v2
	v_and_or_b32 v36, v38, 7, v2
                                        ; implicit-def: $vgpr2
; %bb.56:                               ;   in Loop: Header=BB18_31 Depth=2
	s_andn2_saveexec_b64 s[2:3], s[2:3]
; %bb.57:                               ;   in Loop: Header=BB18_31 Depth=2
	v_pk_mov_b32 v[36:37], v[2:3], v[2:3] op_sel:[0,1]
; %bb.58:                               ;   in Loop: Header=BB18_31 Depth=2
	s_or_b64 exec, exec, s[2:3]
.LBB18_59:                              ;   in Loop: Header=BB18_31 Depth=2
	s_or_b64 exec, exec, s[12:13]
.LBB18_60:                              ;   in Loop: Header=BB18_31 Depth=2
	s_andn2_saveexec_b64 s[2:3], s[10:11]
	s_or_b64 exec, exec, s[2:3]
                                        ; implicit-def: $vgpr35
.LBB18_61:                              ;   in Loop: Header=BB18_31 Depth=2
	s_andn2_saveexec_b64 s[2:3], s[8:9]
; %bb.62:                               ;   in Loop: Header=BB18_31 Depth=2
	v_or_b32_sdwa v2, v35, s40 dst_sel:DWORD dst_unused:UNUSED_PAD src0_sel:BYTE_3 src1_sel:DWORD
	v_cmp_eq_u64_e32 vcc, 0, v[10:11]
	v_cndmask_b32_e32 v36, v2, v36, vcc
; %bb.63:                               ;   in Loop: Header=BB18_31 Depth=2
	s_or_b64 exec, exec, s[2:3]
	v_cvt_f32_f16_e32 v2, v3
	v_mov_b32_e32 v41, v11
	v_div_scale_f32 v10, s[2:3], s95, s95, v2
	v_rcp_f32_e32 v35, v10
	v_div_scale_f32 v37, vcc, v2, s95, v2
	v_fma_f32 v38, -v10, v35, 1.0
	v_fmac_f32_e32 v35, v38, v35
	v_mul_f32_e32 v38, v37, v35
	v_fma_f32 v39, -v10, v38, v37
	v_fmac_f32_e32 v38, v39, v35
	v_fma_f32 v10, -v10, v38, v37
	v_div_fmas_f32 v10, v10, v35, v38
	v_div_fixup_f32 v2, v10, s95, v2
	v_cvt_f16_f32_e32 v2, v2
	v_cvt_f32_f16_e32 v35, v2
	v_and_b32_sdwa v2, v35, s58 dst_sel:DWORD dst_unused:UNUSED_PAD src0_sel:BYTE_3 src1_sel:DWORD
	v_and_b32_e32 v40, 0x7f800000, v35
	v_and_b32_e32 v10, 0x7fffff, v35
	v_or_b32_e32 v38, 0x7e, v2
	v_cmp_ne_u64_e32 vcc, s[62:63], v[40:41]
	s_and_saveexec_b64 s[2:3], vcc
	s_xor_b64 s[8:9], exec, s[2:3]
	s_cbranch_execz .LBB18_77
; %bb.64:                               ;   in Loop: Header=BB18_31 Depth=2
	v_and_b32_e32 v40, 0x7fffffff, v35
	v_mov_b32_e32 v41, v11
	v_cmp_gt_u64_e32 vcc, s[64:65], v[40:41]
	s_and_saveexec_b64 s[2:3], vcc
	s_xor_b64 s[10:11], exec, s[2:3]
	s_cbranch_execz .LBB18_76
; %bb.65:                               ;   in Loop: Header=BB18_31 Depth=2
	v_cmp_ne_u32_e32 vcc, 0, v35
	v_pk_mov_b32 v[38:39], 0, 0
	s_and_saveexec_b64 s[12:13], vcc
	s_cbranch_execz .LBB18_75
; %bb.66:                               ;   in Loop: Header=BB18_31 Depth=2
	v_bfe_u32 v35, v35, 23, 8
	v_sub_u32_e32 v38, 0x79, v35
	v_cmp_gt_u32_e32 vcc, s59, v35
	v_add_u32_e32 v37, 0xffffff81, v35
	v_cndmask_b32_e32 v38, 0, v38, vcc
	v_cmp_eq_u32_e32 vcc, 0, v35
	v_cndmask_b32_e32 v35, v37, v88, vcc
	v_cndmask_b32_e32 v37, v38, v89, vcc
	v_or_b32_e32 v39, 0x800000, v10
	v_add_u32_e32 v38, 20, v37
	v_cndmask_b32_e32 v10, v39, v10, vcc
	v_lshlrev_b64 v[38:39], v38, -1
	v_not_b32_e32 v38, v38
	v_lshrrev_b64 v[42:43], v37, v[10:11]
	v_not_b32_e32 v39, v39
	v_and_b32_e32 v38, v10, v38
	v_add_u32_e32 v40, 19, v37
	v_lshrrev_b32_e32 v10, 23, v42
	v_and_b32_e32 v39, 0, v39
	v_lshlrev_b64 v[40:41], v40, 1
	v_add3_u32 v37, v37, v35, v10
	v_bfe_u32 v10, v42, 20, 1
	v_add_u32_e32 v10, -1, v10
	v_cmp_eq_u64_e32 vcc, v[38:39], v[40:41]
	v_cndmask_b32_e32 v10, 0, v10, vcc
	v_add_u32_e32 v10, v10, v42
	v_and_b32_e32 v10, 0xfffff, v10
	v_add_co_u32_e32 v38, vcc, v10, v42
	v_add_u32_e32 v35, 6, v37
	v_addc_co_u32_e32 v39, vcc, 0, v43, vcc
	v_cmp_ne_u32_e32 vcc, 0, v35
                                        ; implicit-def: $vgpr10
	s_and_saveexec_b64 s[2:3], vcc
	s_xor_b64 s[2:3], exec, s[2:3]
; %bb.67:                               ;   in Loop: Header=BB18_31 Depth=2
	v_add_u32_e32 v10, 7, v37
	v_cmp_lt_u64_e32 vcc, s[66:67], v[38:39]
	v_cndmask_b32_e32 v10, v35, v10, vcc
	v_cndmask_b32_e64 v35, 0, 1, vcc
	v_lshrrev_b64 v[38:39], v35, v[38:39]
; %bb.68:                               ;   in Loop: Header=BB18_31 Depth=2
	s_andn2_saveexec_b64 s[2:3], s[2:3]
; %bb.69:                               ;   in Loop: Header=BB18_31 Depth=2
	v_bfe_u32 v10, v38, 23, 1
; %bb.70:                               ;   in Loop: Header=BB18_31 Depth=2
	s_or_b64 exec, exec, s[2:3]
	v_lshrrev_b64 v[38:39], 20, v[38:39]
	v_cmp_gt_i32_e32 vcc, 16, v10
	v_cndmask_b32_e32 v41, 0, v39, vcc
	v_cndmask_b32_e32 v40, 7, v38, vcc
	v_cmp_ne_u32_e32 vcc, 0, v10
	v_cmp_ne_u64_e64 s[2:3], 0, v[40:41]
	s_or_b64 s[2:3], vcc, s[2:3]
                                        ; implicit-def: $vgpr38_vgpr39
	s_and_saveexec_b64 s[14:15], s[2:3]
	s_xor_b64 s[2:3], exec, s[14:15]
; %bb.71:                               ;   in Loop: Header=BB18_31 Depth=2
	v_min_i32_e32 v10, 15, v10
	v_lshl_or_b32 v2, v10, 3, v2
	v_and_or_b32 v38, v40, 7, v2
                                        ; implicit-def: $vgpr2
; %bb.72:                               ;   in Loop: Header=BB18_31 Depth=2
	s_andn2_saveexec_b64 s[2:3], s[2:3]
; %bb.73:                               ;   in Loop: Header=BB18_31 Depth=2
	v_pk_mov_b32 v[38:39], v[2:3], v[2:3] op_sel:[0,1]
; %bb.74:                               ;   in Loop: Header=BB18_31 Depth=2
	s_or_b64 exec, exec, s[2:3]
.LBB18_75:                              ;   in Loop: Header=BB18_31 Depth=2
	s_or_b64 exec, exec, s[12:13]
.LBB18_76:                              ;   in Loop: Header=BB18_31 Depth=2
	s_andn2_saveexec_b64 s[2:3], s[10:11]
	s_or_b64 exec, exec, s[2:3]
                                        ; implicit-def: $vgpr35
.LBB18_77:                              ;   in Loop: Header=BB18_31 Depth=2
	s_andn2_saveexec_b64 s[2:3], s[8:9]
; %bb.78:                               ;   in Loop: Header=BB18_31 Depth=2
	v_or_b32_sdwa v2, v35, s40 dst_sel:DWORD dst_unused:UNUSED_PAD src0_sel:BYTE_3 src1_sel:DWORD
	v_cmp_eq_u64_e32 vcc, 0, v[10:11]
	v_cndmask_b32_e32 v38, v2, v38, vcc
; %bb.79:                               ;   in Loop: Header=BB18_31 Depth=2
	s_or_b64 exec, exec, s[2:3]
	v_cvt_f32_f16_sdwa v2, v3 dst_sel:DWORD dst_unused:UNUSED_PAD src0_sel:WORD_1
	v_mov_b32_e32 v43, v11
	v_div_scale_f32 v3, s[2:3], s95, s95, v2
	v_rcp_f32_e32 v10, v3
	v_div_scale_f32 v35, vcc, v2, s95, v2
	v_fma_f32 v37, -v3, v10, 1.0
	v_fmac_f32_e32 v10, v37, v10
	v_mul_f32_e32 v37, v35, v10
	v_fma_f32 v39, -v3, v37, v35
	v_fmac_f32_e32 v37, v39, v10
	v_fma_f32 v3, -v3, v37, v35
	v_div_fmas_f32 v3, v3, v10, v37
	v_div_fixup_f32 v2, v3, s95, v2
	v_cvt_f16_f32_e32 v2, v2
	v_cvt_f32_f16_e32 v35, v2
	v_and_b32_sdwa v40, v35, s58 dst_sel:DWORD dst_unused:UNUSED_PAD src0_sel:BYTE_3 src1_sel:DWORD
	v_and_b32_e32 v42, 0x7f800000, v35
	v_and_b32_e32 v10, 0x7fffff, v35
	v_or_b32_e32 v2, 0x7e, v40
	v_cmp_ne_u64_e32 vcc, s[62:63], v[42:43]
	s_and_saveexec_b64 s[2:3], vcc
	s_xor_b64 s[8:9], exec, s[2:3]
	s_cbranch_execz .LBB18_93
; %bb.80:                               ;   in Loop: Header=BB18_31 Depth=2
	v_and_b32_e32 v42, 0x7fffffff, v35
	v_mov_b32_e32 v43, v11
	v_cmp_gt_u64_e32 vcc, s[64:65], v[42:43]
	s_and_saveexec_b64 s[2:3], vcc
	s_xor_b64 s[10:11], exec, s[2:3]
	s_cbranch_execz .LBB18_92
; %bb.81:                               ;   in Loop: Header=BB18_31 Depth=2
	v_cmp_ne_u32_e32 vcc, 0, v35
	v_pk_mov_b32 v[2:3], 0, 0
	s_and_saveexec_b64 s[12:13], vcc
	s_cbranch_execz .LBB18_91
; %bb.82:                               ;   in Loop: Header=BB18_31 Depth=2
	v_bfe_u32 v2, v35, 23, 8
	v_sub_u32_e32 v35, 0x79, v2
	v_cmp_gt_u32_e32 vcc, s59, v2
	v_cndmask_b32_e32 v35, 0, v35, vcc
	v_cmp_eq_u32_e32 vcc, 0, v2
	v_cndmask_b32_e32 v35, v35, v89, vcc
	v_add_u32_e32 v3, 0xffffff81, v2
	v_or_b32_e32 v37, 0x800000, v10
	v_add_u32_e32 v2, 20, v35
	v_cndmask_b32_e32 v39, v3, v88, vcc
	v_cndmask_b32_e32 v10, v37, v10, vcc
	v_lshlrev_b64 v[2:3], v2, -1
	v_not_b32_e32 v2, v2
	v_lshrrev_b64 v[44:45], v35, v[10:11]
	v_not_b32_e32 v3, v3
	v_and_b32_e32 v2, v10, v2
	v_add_u32_e32 v37, 19, v35
	v_lshrrev_b32_e32 v10, 23, v44
	v_and_b32_e32 v3, 0, v3
	v_lshlrev_b64 v[42:43], v37, 1
	v_add3_u32 v37, v35, v39, v10
	v_bfe_u32 v10, v44, 20, 1
	v_add_u32_e32 v10, -1, v10
	v_cmp_eq_u64_e32 vcc, v[2:3], v[42:43]
	v_cndmask_b32_e32 v2, 0, v10, vcc
	v_add_u32_e32 v2, v2, v44
	v_and_b32_e32 v2, 0xfffff, v2
	v_add_co_u32_e32 v2, vcc, v2, v44
	v_add_u32_e32 v35, 6, v37
	v_addc_co_u32_e32 v3, vcc, 0, v45, vcc
	v_cmp_ne_u32_e32 vcc, 0, v35
                                        ; implicit-def: $vgpr10
	s_and_saveexec_b64 s[2:3], vcc
	s_xor_b64 s[2:3], exec, s[2:3]
; %bb.83:                               ;   in Loop: Header=BB18_31 Depth=2
	v_add_u32_e32 v10, 7, v37
	v_cmp_lt_u64_e32 vcc, s[66:67], v[2:3]
	v_cndmask_b32_e32 v10, v35, v10, vcc
	v_cndmask_b32_e64 v35, 0, 1, vcc
	v_lshrrev_b64 v[2:3], v35, v[2:3]
; %bb.84:                               ;   in Loop: Header=BB18_31 Depth=2
	s_andn2_saveexec_b64 s[2:3], s[2:3]
; %bb.85:                               ;   in Loop: Header=BB18_31 Depth=2
	v_bfe_u32 v10, v2, 23, 1
; %bb.86:                               ;   in Loop: Header=BB18_31 Depth=2
	s_or_b64 exec, exec, s[2:3]
	v_lshrrev_b64 v[2:3], 20, v[2:3]
	v_cmp_gt_i32_e32 vcc, 16, v10
	v_cndmask_b32_e32 v43, 0, v3, vcc
	v_cndmask_b32_e32 v42, 7, v2, vcc
	v_cmp_ne_u32_e32 vcc, 0, v10
	v_cmp_ne_u64_e64 s[2:3], 0, v[42:43]
	s_or_b64 s[2:3], vcc, s[2:3]
                                        ; implicit-def: $vgpr2_vgpr3
	s_and_saveexec_b64 s[14:15], s[2:3]
	s_xor_b64 s[2:3], exec, s[14:15]
; %bb.87:                               ;   in Loop: Header=BB18_31 Depth=2
	v_min_i32_e32 v2, 15, v10
	v_lshl_or_b32 v2, v2, 3, v40
	v_and_or_b32 v2, v42, 7, v2
                                        ; implicit-def: $vgpr40
; %bb.88:                               ;   in Loop: Header=BB18_31 Depth=2
	s_andn2_saveexec_b64 s[2:3], s[2:3]
; %bb.89:                               ;   in Loop: Header=BB18_31 Depth=2
	v_pk_mov_b32 v[2:3], v[40:41], v[40:41] op_sel:[0,1]
; %bb.90:                               ;   in Loop: Header=BB18_31 Depth=2
	s_or_b64 exec, exec, s[2:3]
.LBB18_91:                              ;   in Loop: Header=BB18_31 Depth=2
	s_or_b64 exec, exec, s[12:13]
.LBB18_92:                              ;   in Loop: Header=BB18_31 Depth=2
	s_andn2_saveexec_b64 s[2:3], s[10:11]
	s_or_b64 exec, exec, s[2:3]
                                        ; implicit-def: $vgpr35
.LBB18_93:                              ;   in Loop: Header=BB18_31 Depth=2
	s_andn2_saveexec_b64 s[2:3], s[8:9]
; %bb.94:                               ;   in Loop: Header=BB18_31 Depth=2
	v_or_b32_sdwa v3, v35, s40 dst_sel:DWORD dst_unused:UNUSED_PAD src0_sel:BYTE_3 src1_sel:DWORD
	v_cmp_eq_u64_e32 vcc, 0, v[10:11]
	v_cndmask_b32_e32 v2, v3, v2, vcc
; %bb.95:                               ;   in Loop: Header=BB18_31 Depth=2
	s_or_b64 exec, exec, s[2:3]
	v_cvt_f32_f16_e32 v3, v4
	v_mov_b32_e32 v45, v11
	v_div_scale_f32 v10, s[2:3], s95, s95, v3
	v_rcp_f32_e32 v35, v10
	v_div_scale_f32 v37, vcc, v3, s95, v3
	v_fma_f32 v39, -v10, v35, 1.0
	v_fmac_f32_e32 v35, v39, v35
	v_mul_f32_e32 v39, v37, v35
	v_fma_f32 v40, -v10, v39, v37
	v_fmac_f32_e32 v39, v40, v35
	v_fma_f32 v10, -v10, v39, v37
	v_div_fmas_f32 v10, v10, v35, v39
	v_div_fixup_f32 v3, v10, s95, v3
	v_cvt_f16_f32_e32 v3, v3
	v_cvt_f32_f16_e32 v3, v3
	v_and_b32_sdwa v42, v3, s58 dst_sel:DWORD dst_unused:UNUSED_PAD src0_sel:BYTE_3 src1_sel:DWORD
	v_and_b32_e32 v44, 0x7f800000, v3
	v_and_b32_e32 v10, 0x7fffff, v3
	v_or_b32_e32 v40, 0x7e, v42
	v_cmp_ne_u64_e32 vcc, s[62:63], v[44:45]
	s_and_saveexec_b64 s[2:3], vcc
	s_xor_b64 s[8:9], exec, s[2:3]
	s_cbranch_execz .LBB18_109
; %bb.96:                               ;   in Loop: Header=BB18_31 Depth=2
	v_and_b32_e32 v44, 0x7fffffff, v3
	v_mov_b32_e32 v45, v11
	v_cmp_gt_u64_e32 vcc, s[64:65], v[44:45]
	s_and_saveexec_b64 s[2:3], vcc
	s_xor_b64 s[10:11], exec, s[2:3]
	s_cbranch_execz .LBB18_108
; %bb.97:                               ;   in Loop: Header=BB18_31 Depth=2
	v_cmp_ne_u32_e32 vcc, 0, v3
	v_pk_mov_b32 v[40:41], 0, 0
	s_and_saveexec_b64 s[12:13], vcc
	s_cbranch_execz .LBB18_107
; %bb.98:                               ;   in Loop: Header=BB18_31 Depth=2
	v_bfe_u32 v3, v3, 23, 8
	v_sub_u32_e32 v37, 0x79, v3
	v_cmp_gt_u32_e32 vcc, s59, v3
	v_add_u32_e32 v35, 0xffffff81, v3
	v_cndmask_b32_e32 v37, 0, v37, vcc
	v_cmp_eq_u32_e32 vcc, 0, v3
	v_cndmask_b32_e32 v3, v35, v88, vcc
	v_cndmask_b32_e32 v35, v37, v89, vcc
	v_or_b32_e32 v39, 0x800000, v10
	v_add_u32_e32 v37, 20, v35
	v_cndmask_b32_e32 v10, v39, v10, vcc
	v_lshlrev_b64 v[40:41], v37, -1
	v_not_b32_e32 v37, v41
	v_not_b32_e32 v39, v40
	v_lshrrev_b64 v[46:47], v35, v[10:11]
	v_and_b32_e32 v41, 0, v37
	v_and_b32_e32 v40, v10, v39
	v_add_u32_e32 v37, 19, v35
	v_lshrrev_b32_e32 v10, 23, v46
	v_lshlrev_b64 v[44:45], v37, 1
	v_add3_u32 v35, v35, v3, v10
	v_bfe_u32 v3, v46, 20, 1
	v_add_u32_e32 v3, -1, v3
	v_cmp_eq_u64_e32 vcc, v[40:41], v[44:45]
	v_cndmask_b32_e32 v3, 0, v3, vcc
	v_add_u32_e32 v3, v3, v46
	v_and_b32_e32 v3, 0xfffff, v3
	v_add_co_u32_e32 v40, vcc, v3, v46
	v_add_u32_e32 v10, 6, v35
	v_addc_co_u32_e32 v41, vcc, 0, v47, vcc
	v_cmp_ne_u32_e32 vcc, 0, v10
                                        ; implicit-def: $vgpr3
	s_and_saveexec_b64 s[2:3], vcc
	s_xor_b64 s[2:3], exec, s[2:3]
; %bb.99:                               ;   in Loop: Header=BB18_31 Depth=2
	v_add_u32_e32 v3, 7, v35
	v_cmp_lt_u64_e32 vcc, s[66:67], v[40:41]
	v_cndmask_b32_e32 v3, v10, v3, vcc
	v_cndmask_b32_e64 v10, 0, 1, vcc
	v_lshrrev_b64 v[40:41], v10, v[40:41]
; %bb.100:                              ;   in Loop: Header=BB18_31 Depth=2
	s_andn2_saveexec_b64 s[2:3], s[2:3]
; %bb.101:                              ;   in Loop: Header=BB18_31 Depth=2
	v_bfe_u32 v3, v40, 23, 1
; %bb.102:                              ;   in Loop: Header=BB18_31 Depth=2
	s_or_b64 exec, exec, s[2:3]
	v_lshrrev_b64 v[40:41], 20, v[40:41]
	v_cmp_gt_i32_e32 vcc, 16, v3
	v_cndmask_b32_e32 v45, 0, v41, vcc
	v_cndmask_b32_e32 v44, 7, v40, vcc
	v_cmp_ne_u32_e32 vcc, 0, v3
	v_cmp_ne_u64_e64 s[2:3], 0, v[44:45]
	s_or_b64 s[2:3], vcc, s[2:3]
                                        ; implicit-def: $vgpr40_vgpr41
	s_and_saveexec_b64 s[14:15], s[2:3]
	s_xor_b64 s[2:3], exec, s[14:15]
; %bb.103:                              ;   in Loop: Header=BB18_31 Depth=2
	v_min_i32_e32 v3, 15, v3
	v_lshl_or_b32 v3, v3, 3, v42
	v_and_or_b32 v40, v44, 7, v3
                                        ; implicit-def: $vgpr42
; %bb.104:                              ;   in Loop: Header=BB18_31 Depth=2
	s_andn2_saveexec_b64 s[2:3], s[2:3]
; %bb.105:                              ;   in Loop: Header=BB18_31 Depth=2
	v_pk_mov_b32 v[40:41], v[42:43], v[42:43] op_sel:[0,1]
; %bb.106:                              ;   in Loop: Header=BB18_31 Depth=2
	s_or_b64 exec, exec, s[2:3]
.LBB18_107:                             ;   in Loop: Header=BB18_31 Depth=2
	s_or_b64 exec, exec, s[12:13]
.LBB18_108:                             ;   in Loop: Header=BB18_31 Depth=2
	s_andn2_saveexec_b64 s[2:3], s[10:11]
	s_or_b64 exec, exec, s[2:3]
                                        ; implicit-def: $vgpr3
.LBB18_109:                             ;   in Loop: Header=BB18_31 Depth=2
	s_andn2_saveexec_b64 s[2:3], s[8:9]
; %bb.110:                              ;   in Loop: Header=BB18_31 Depth=2
	v_or_b32_sdwa v3, v3, s40 dst_sel:DWORD dst_unused:UNUSED_PAD src0_sel:BYTE_3 src1_sel:DWORD
	v_cmp_eq_u64_e32 vcc, 0, v[10:11]
	v_cndmask_b32_e32 v40, v3, v40, vcc
; %bb.111:                              ;   in Loop: Header=BB18_31 Depth=2
	s_or_b64 exec, exec, s[2:3]
	v_cvt_f32_f16_sdwa v3, v4 dst_sel:DWORD dst_unused:UNUSED_PAD src0_sel:WORD_1
	v_mov_b32_e32 v45, v11
	v_div_scale_f32 v4, s[2:3], s95, s95, v3
	v_rcp_f32_e32 v10, v4
	v_div_scale_f32 v35, vcc, v3, s95, v3
	v_fma_f32 v37, -v4, v10, 1.0
	v_fmac_f32_e32 v10, v37, v10
	v_mul_f32_e32 v37, v35, v10
	v_fma_f32 v39, -v4, v37, v35
	v_fmac_f32_e32 v37, v39, v10
	v_fma_f32 v4, -v4, v37, v35
	v_div_fmas_f32 v4, v4, v10, v37
	v_div_fixup_f32 v3, v4, s95, v3
	v_cvt_f16_f32_e32 v3, v3
	v_cvt_f32_f16_e32 v3, v3
	v_and_b32_sdwa v4, v3, s58 dst_sel:DWORD dst_unused:UNUSED_PAD src0_sel:BYTE_3 src1_sel:DWORD
	v_and_b32_e32 v44, 0x7f800000, v3
	v_and_b32_e32 v10, 0x7fffff, v3
	v_or_b32_e32 v42, 0x7e, v4
	v_cmp_ne_u64_e32 vcc, s[62:63], v[44:45]
	s_and_saveexec_b64 s[2:3], vcc
	s_xor_b64 s[8:9], exec, s[2:3]
	s_cbranch_execz .LBB18_125
; %bb.112:                              ;   in Loop: Header=BB18_31 Depth=2
	v_and_b32_e32 v44, 0x7fffffff, v3
	v_mov_b32_e32 v45, v11
	v_cmp_gt_u64_e32 vcc, s[64:65], v[44:45]
	s_and_saveexec_b64 s[2:3], vcc
	s_xor_b64 s[10:11], exec, s[2:3]
	s_cbranch_execz .LBB18_124
; %bb.113:                              ;   in Loop: Header=BB18_31 Depth=2
	v_cmp_ne_u32_e32 vcc, 0, v3
	v_pk_mov_b32 v[42:43], 0, 0
	s_and_saveexec_b64 s[12:13], vcc
	s_cbranch_execz .LBB18_123
; %bb.114:                              ;   in Loop: Header=BB18_31 Depth=2
	v_bfe_u32 v3, v3, 23, 8
	v_sub_u32_e32 v37, 0x79, v3
	v_cmp_gt_u32_e32 vcc, s59, v3
	v_add_u32_e32 v35, 0xffffff81, v3
	v_cndmask_b32_e32 v37, 0, v37, vcc
	v_cmp_eq_u32_e32 vcc, 0, v3
	v_cndmask_b32_e32 v3, v35, v88, vcc
	v_cndmask_b32_e32 v35, v37, v89, vcc
	v_or_b32_e32 v39, 0x800000, v10
	v_add_u32_e32 v37, 20, v35
	v_cndmask_b32_e32 v10, v39, v10, vcc
	v_lshlrev_b64 v[42:43], v37, -1
	v_not_b32_e32 v37, v43
	v_not_b32_e32 v39, v42
	v_lshrrev_b64 v[46:47], v35, v[10:11]
	v_and_b32_e32 v43, 0, v37
	v_and_b32_e32 v42, v10, v39
	v_add_u32_e32 v37, 19, v35
	v_lshrrev_b32_e32 v10, 23, v46
	v_lshlrev_b64 v[44:45], v37, 1
	v_add3_u32 v35, v35, v3, v10
	v_bfe_u32 v3, v46, 20, 1
	v_add_u32_e32 v3, -1, v3
	v_cmp_eq_u64_e32 vcc, v[42:43], v[44:45]
	v_cndmask_b32_e32 v3, 0, v3, vcc
	v_add_u32_e32 v3, v3, v46
	v_and_b32_e32 v3, 0xfffff, v3
	v_add_co_u32_e32 v42, vcc, v3, v46
	v_add_u32_e32 v10, 6, v35
	v_addc_co_u32_e32 v43, vcc, 0, v47, vcc
	v_cmp_ne_u32_e32 vcc, 0, v10
                                        ; implicit-def: $vgpr3
	s_and_saveexec_b64 s[2:3], vcc
	s_xor_b64 s[2:3], exec, s[2:3]
; %bb.115:                              ;   in Loop: Header=BB18_31 Depth=2
	v_add_u32_e32 v3, 7, v35
	v_cmp_lt_u64_e32 vcc, s[66:67], v[42:43]
	v_cndmask_b32_e32 v3, v10, v3, vcc
	v_cndmask_b32_e64 v10, 0, 1, vcc
	v_lshrrev_b64 v[42:43], v10, v[42:43]
; %bb.116:                              ;   in Loop: Header=BB18_31 Depth=2
	s_andn2_saveexec_b64 s[2:3], s[2:3]
; %bb.117:                              ;   in Loop: Header=BB18_31 Depth=2
	v_bfe_u32 v3, v42, 23, 1
; %bb.118:                              ;   in Loop: Header=BB18_31 Depth=2
	s_or_b64 exec, exec, s[2:3]
	v_lshrrev_b64 v[42:43], 20, v[42:43]
	v_cmp_gt_i32_e32 vcc, 16, v3
	v_cndmask_b32_e32 v45, 0, v43, vcc
	v_cndmask_b32_e32 v44, 7, v42, vcc
	v_cmp_ne_u32_e32 vcc, 0, v3
	v_cmp_ne_u64_e64 s[2:3], 0, v[44:45]
	s_or_b64 s[2:3], vcc, s[2:3]
                                        ; implicit-def: $vgpr42_vgpr43
	s_and_saveexec_b64 s[14:15], s[2:3]
	s_xor_b64 s[2:3], exec, s[14:15]
; %bb.119:                              ;   in Loop: Header=BB18_31 Depth=2
	v_min_i32_e32 v3, 15, v3
	v_lshl_or_b32 v3, v3, 3, v4
	v_and_or_b32 v42, v44, 7, v3
                                        ; implicit-def: $vgpr4
; %bb.120:                              ;   in Loop: Header=BB18_31 Depth=2
	s_andn2_saveexec_b64 s[2:3], s[2:3]
; %bb.121:                              ;   in Loop: Header=BB18_31 Depth=2
	v_pk_mov_b32 v[42:43], v[4:5], v[4:5] op_sel:[0,1]
; %bb.122:                              ;   in Loop: Header=BB18_31 Depth=2
	s_or_b64 exec, exec, s[2:3]
.LBB18_123:                             ;   in Loop: Header=BB18_31 Depth=2
	s_or_b64 exec, exec, s[12:13]
.LBB18_124:                             ;   in Loop: Header=BB18_31 Depth=2
	s_andn2_saveexec_b64 s[2:3], s[10:11]
	s_or_b64 exec, exec, s[2:3]
                                        ; implicit-def: $vgpr3
.LBB18_125:                             ;   in Loop: Header=BB18_31 Depth=2
	s_andn2_saveexec_b64 s[2:3], s[8:9]
; %bb.126:                              ;   in Loop: Header=BB18_31 Depth=2
	v_or_b32_sdwa v3, v3, s40 dst_sel:DWORD dst_unused:UNUSED_PAD src0_sel:BYTE_3 src1_sel:DWORD
	v_cmp_eq_u64_e32 vcc, 0, v[10:11]
	v_cndmask_b32_e32 v42, v3, v42, vcc
; %bb.127:                              ;   in Loop: Header=BB18_31 Depth=2
	s_or_b64 exec, exec, s[2:3]
	v_cvt_f32_f16_e32 v3, v5
	v_mov_b32_e32 v47, v11
	v_div_scale_f32 v4, s[2:3], s95, s95, v3
	v_rcp_f32_e32 v10, v4
	v_div_scale_f32 v35, vcc, v3, s95, v3
	v_fma_f32 v37, -v4, v10, 1.0
	v_fmac_f32_e32 v10, v37, v10
	v_mul_f32_e32 v37, v35, v10
	v_fma_f32 v39, -v4, v37, v35
	v_fmac_f32_e32 v37, v39, v10
	v_fma_f32 v4, -v4, v37, v35
	v_div_fmas_f32 v4, v4, v10, v37
	v_div_fixup_f32 v3, v4, s95, v3
	v_cvt_f16_f32_e32 v3, v3
	v_cvt_f32_f16_e32 v3, v3
	v_and_b32_sdwa v4, v3, s58 dst_sel:DWORD dst_unused:UNUSED_PAD src0_sel:BYTE_3 src1_sel:DWORD
	v_and_b32_e32 v46, 0x7f800000, v3
	v_and_b32_e32 v10, 0x7fffff, v3
	v_or_b32_e32 v44, 0x7e, v4
	v_cmp_ne_u64_e32 vcc, s[62:63], v[46:47]
	s_and_saveexec_b64 s[2:3], vcc
	s_xor_b64 s[8:9], exec, s[2:3]
	s_cbranch_execz .LBB18_141
; %bb.128:                              ;   in Loop: Header=BB18_31 Depth=2
	v_and_b32_e32 v46, 0x7fffffff, v3
	v_mov_b32_e32 v47, v11
	v_cmp_gt_u64_e32 vcc, s[64:65], v[46:47]
	s_and_saveexec_b64 s[2:3], vcc
	s_xor_b64 s[10:11], exec, s[2:3]
	s_cbranch_execz .LBB18_140
; %bb.129:                              ;   in Loop: Header=BB18_31 Depth=2
	v_cmp_ne_u32_e32 vcc, 0, v3
	v_pk_mov_b32 v[44:45], 0, 0
	s_and_saveexec_b64 s[12:13], vcc
	s_cbranch_execz .LBB18_139
; %bb.130:                              ;   in Loop: Header=BB18_31 Depth=2
	v_bfe_u32 v3, v3, 23, 8
	v_sub_u32_e32 v37, 0x79, v3
	v_cmp_gt_u32_e32 vcc, s59, v3
	v_add_u32_e32 v35, 0xffffff81, v3
	v_cndmask_b32_e32 v37, 0, v37, vcc
	v_cmp_eq_u32_e32 vcc, 0, v3
	v_cndmask_b32_e32 v3, v35, v88, vcc
	v_cndmask_b32_e32 v35, v37, v89, vcc
	v_or_b32_e32 v39, 0x800000, v10
	v_add_u32_e32 v37, 20, v35
	v_cndmask_b32_e32 v10, v39, v10, vcc
	v_lshlrev_b64 v[44:45], v37, -1
	v_not_b32_e32 v37, v45
	v_not_b32_e32 v39, v44
	v_lshrrev_b64 v[48:49], v35, v[10:11]
	v_and_b32_e32 v45, 0, v37
	v_and_b32_e32 v44, v10, v39
	v_add_u32_e32 v37, 19, v35
	v_lshrrev_b32_e32 v10, 23, v48
	v_lshlrev_b64 v[46:47], v37, 1
	v_add3_u32 v35, v35, v3, v10
	v_bfe_u32 v3, v48, 20, 1
	v_add_u32_e32 v3, -1, v3
	v_cmp_eq_u64_e32 vcc, v[44:45], v[46:47]
	v_cndmask_b32_e32 v3, 0, v3, vcc
	v_add_u32_e32 v3, v3, v48
	v_and_b32_e32 v3, 0xfffff, v3
	v_add_co_u32_e32 v44, vcc, v3, v48
	v_add_u32_e32 v10, 6, v35
	v_addc_co_u32_e32 v45, vcc, 0, v49, vcc
	v_cmp_ne_u32_e32 vcc, 0, v10
                                        ; implicit-def: $vgpr3
	s_and_saveexec_b64 s[2:3], vcc
	s_xor_b64 s[2:3], exec, s[2:3]
; %bb.131:                              ;   in Loop: Header=BB18_31 Depth=2
	v_add_u32_e32 v3, 7, v35
	v_cmp_lt_u64_e32 vcc, s[66:67], v[44:45]
	v_cndmask_b32_e32 v3, v10, v3, vcc
	v_cndmask_b32_e64 v10, 0, 1, vcc
	v_lshrrev_b64 v[44:45], v10, v[44:45]
; %bb.132:                              ;   in Loop: Header=BB18_31 Depth=2
	s_andn2_saveexec_b64 s[2:3], s[2:3]
; %bb.133:                              ;   in Loop: Header=BB18_31 Depth=2
	v_bfe_u32 v3, v44, 23, 1
; %bb.134:                              ;   in Loop: Header=BB18_31 Depth=2
	s_or_b64 exec, exec, s[2:3]
	v_lshrrev_b64 v[44:45], 20, v[44:45]
	v_cmp_gt_i32_e32 vcc, 16, v3
	v_cndmask_b32_e32 v47, 0, v45, vcc
	v_cndmask_b32_e32 v46, 7, v44, vcc
	v_cmp_ne_u32_e32 vcc, 0, v3
	v_cmp_ne_u64_e64 s[2:3], 0, v[46:47]
	s_or_b64 s[2:3], vcc, s[2:3]
                                        ; implicit-def: $vgpr44_vgpr45
	s_and_saveexec_b64 s[14:15], s[2:3]
	s_xor_b64 s[2:3], exec, s[14:15]
; %bb.135:                              ;   in Loop: Header=BB18_31 Depth=2
	v_min_i32_e32 v3, 15, v3
	v_lshl_or_b32 v3, v3, 3, v4
	v_and_or_b32 v44, v46, 7, v3
                                        ; implicit-def: $vgpr4
; %bb.136:                              ;   in Loop: Header=BB18_31 Depth=2
	s_andn2_saveexec_b64 s[2:3], s[2:3]
; %bb.137:                              ;   in Loop: Header=BB18_31 Depth=2
	v_pk_mov_b32 v[44:45], v[4:5], v[4:5] op_sel:[0,1]
; %bb.138:                              ;   in Loop: Header=BB18_31 Depth=2
	s_or_b64 exec, exec, s[2:3]
.LBB18_139:                             ;   in Loop: Header=BB18_31 Depth=2
	s_or_b64 exec, exec, s[12:13]
.LBB18_140:                             ;   in Loop: Header=BB18_31 Depth=2
	s_andn2_saveexec_b64 s[2:3], s[10:11]
	s_or_b64 exec, exec, s[2:3]
                                        ; implicit-def: $vgpr3
.LBB18_141:                             ;   in Loop: Header=BB18_31 Depth=2
	s_andn2_saveexec_b64 s[2:3], s[8:9]
; %bb.142:                              ;   in Loop: Header=BB18_31 Depth=2
	v_or_b32_sdwa v3, v3, s40 dst_sel:DWORD dst_unused:UNUSED_PAD src0_sel:BYTE_3 src1_sel:DWORD
	v_cmp_eq_u64_e32 vcc, 0, v[10:11]
	v_cndmask_b32_e32 v44, v3, v44, vcc
; %bb.143:                              ;   in Loop: Header=BB18_31 Depth=2
	s_or_b64 exec, exec, s[2:3]
	v_cvt_f32_f16_sdwa v3, v5 dst_sel:DWORD dst_unused:UNUSED_PAD src0_sel:WORD_1
	v_mov_b32_e32 v49, v11
	v_div_scale_f32 v4, s[2:3], s95, s95, v3
	v_rcp_f32_e32 v5, v4
	v_div_scale_f32 v10, vcc, v3, s95, v3
	v_fma_f32 v35, -v4, v5, 1.0
	v_fmac_f32_e32 v5, v35, v5
	v_mul_f32_e32 v35, v10, v5
	v_fma_f32 v37, -v4, v35, v10
	v_fmac_f32_e32 v35, v37, v5
	v_fma_f32 v4, -v4, v35, v10
	v_div_fmas_f32 v4, v4, v5, v35
	v_div_fixup_f32 v3, v4, s95, v3
	v_cvt_f16_f32_e32 v3, v3
	v_cvt_f32_f16_e32 v3, v3
	v_and_b32_sdwa v4, v3, s58 dst_sel:DWORD dst_unused:UNUSED_PAD src0_sel:BYTE_3 src1_sel:DWORD
	v_and_b32_e32 v48, 0x7f800000, v3
	v_and_b32_e32 v10, 0x7fffff, v3
	v_or_b32_e32 v46, 0x7e, v4
	v_cmp_ne_u64_e32 vcc, s[62:63], v[48:49]
	s_and_saveexec_b64 s[2:3], vcc
	s_xor_b64 s[8:9], exec, s[2:3]
	s_cbranch_execz .LBB18_157
; %bb.144:                              ;   in Loop: Header=BB18_31 Depth=2
	v_and_b32_e32 v48, 0x7fffffff, v3
	v_mov_b32_e32 v49, v11
	v_cmp_gt_u64_e32 vcc, s[64:65], v[48:49]
	s_and_saveexec_b64 s[2:3], vcc
	s_xor_b64 s[10:11], exec, s[2:3]
	s_cbranch_execz .LBB18_156
; %bb.145:                              ;   in Loop: Header=BB18_31 Depth=2
	v_cmp_ne_u32_e32 vcc, 0, v3
	v_pk_mov_b32 v[46:47], 0, 0
	s_and_saveexec_b64 s[12:13], vcc
	s_cbranch_execz .LBB18_155
; %bb.146:                              ;   in Loop: Header=BB18_31 Depth=2
	v_bfe_u32 v3, v3, 23, 8
	v_sub_u32_e32 v35, 0x79, v3
	v_cmp_gt_u32_e32 vcc, s59, v3
	v_add_u32_e32 v5, 0xffffff81, v3
	v_cndmask_b32_e32 v35, 0, v35, vcc
	v_cmp_eq_u32_e32 vcc, 0, v3
	v_cndmask_b32_e32 v3, v5, v88, vcc
	v_cndmask_b32_e32 v5, v35, v89, vcc
	v_or_b32_e32 v37, 0x800000, v10
	v_add_u32_e32 v35, 20, v5
	v_cndmask_b32_e32 v10, v37, v10, vcc
	v_lshlrev_b64 v[46:47], v35, -1
	v_not_b32_e32 v35, v47
	v_not_b32_e32 v37, v46
	v_lshrrev_b64 v[56:57], v5, v[10:11]
	v_and_b32_e32 v47, 0, v35
	v_and_b32_e32 v46, v10, v37
	v_add_u32_e32 v35, 19, v5
	v_lshrrev_b32_e32 v10, 23, v56
	v_lshlrev_b64 v[48:49], v35, 1
	v_add3_u32 v10, v5, v3, v10
	v_bfe_u32 v3, v56, 20, 1
	v_add_u32_e32 v3, -1, v3
	v_cmp_eq_u64_e32 vcc, v[46:47], v[48:49]
	v_cndmask_b32_e32 v3, 0, v3, vcc
	v_add_u32_e32 v3, v3, v56
	v_and_b32_e32 v3, 0xfffff, v3
	v_add_co_u32_e32 v46, vcc, v3, v56
	v_add_u32_e32 v5, 6, v10
	v_addc_co_u32_e32 v47, vcc, 0, v57, vcc
	v_cmp_ne_u32_e32 vcc, 0, v5
                                        ; implicit-def: $vgpr3
	s_and_saveexec_b64 s[2:3], vcc
	s_xor_b64 s[2:3], exec, s[2:3]
; %bb.147:                              ;   in Loop: Header=BB18_31 Depth=2
	v_add_u32_e32 v3, 7, v10
	v_cmp_lt_u64_e32 vcc, s[66:67], v[46:47]
	v_cndmask_b32_e32 v3, v5, v3, vcc
	v_cndmask_b32_e64 v5, 0, 1, vcc
	v_lshrrev_b64 v[46:47], v5, v[46:47]
; %bb.148:                              ;   in Loop: Header=BB18_31 Depth=2
	s_andn2_saveexec_b64 s[2:3], s[2:3]
; %bb.149:                              ;   in Loop: Header=BB18_31 Depth=2
	v_bfe_u32 v3, v46, 23, 1
; %bb.150:                              ;   in Loop: Header=BB18_31 Depth=2
	s_or_b64 exec, exec, s[2:3]
	v_lshrrev_b64 v[46:47], 20, v[46:47]
	v_cmp_gt_i32_e32 vcc, 16, v3
	v_cndmask_b32_e32 v49, 0, v47, vcc
	v_cndmask_b32_e32 v48, 7, v46, vcc
	v_cmp_ne_u32_e32 vcc, 0, v3
	v_cmp_ne_u64_e64 s[2:3], 0, v[48:49]
	s_or_b64 s[2:3], vcc, s[2:3]
                                        ; implicit-def: $vgpr46_vgpr47
	s_and_saveexec_b64 s[14:15], s[2:3]
	s_xor_b64 s[2:3], exec, s[14:15]
; %bb.151:                              ;   in Loop: Header=BB18_31 Depth=2
	v_min_i32_e32 v3, 15, v3
	v_lshl_or_b32 v3, v3, 3, v4
	v_and_or_b32 v46, v48, 7, v3
                                        ; implicit-def: $vgpr4
; %bb.152:                              ;   in Loop: Header=BB18_31 Depth=2
	s_andn2_saveexec_b64 s[2:3], s[2:3]
; %bb.153:                              ;   in Loop: Header=BB18_31 Depth=2
	v_pk_mov_b32 v[46:47], v[4:5], v[4:5] op_sel:[0,1]
; %bb.154:                              ;   in Loop: Header=BB18_31 Depth=2
	s_or_b64 exec, exec, s[2:3]
.LBB18_155:                             ;   in Loop: Header=BB18_31 Depth=2
	s_or_b64 exec, exec, s[12:13]
.LBB18_156:                             ;   in Loop: Header=BB18_31 Depth=2
	s_andn2_saveexec_b64 s[2:3], s[10:11]
	s_or_b64 exec, exec, s[2:3]
                                        ; implicit-def: $vgpr3
.LBB18_157:                             ;   in Loop: Header=BB18_31 Depth=2
	s_andn2_saveexec_b64 s[2:3], s[8:9]
	s_cbranch_execz .LBB18_30
; %bb.158:                              ;   in Loop: Header=BB18_31 Depth=2
	v_or_b32_sdwa v3, v3, s40 dst_sel:DWORD dst_unused:UNUSED_PAD src0_sel:BYTE_3 src1_sel:DWORD
	v_cmp_eq_u64_e32 vcc, 0, v[10:11]
	v_cndmask_b32_e32 v46, v3, v46, vcc
	s_branch .LBB18_30
.LBB18_159:                             ;   in Loop: Header=BB18_9 Depth=1
	s_or_b64 exec, exec, s[4:5]
	v_lshlrev_b32_e32 v3, 3, v54
	v_add_u32_e32 v2, v3, v8
	v_cmp_lt_i32_e32 vcc, v2, v25
	s_and_saveexec_b64 s[72:73], vcc
	s_cbranch_execz .LBB18_183
; %bb.160:                              ;   in Loop: Header=BB18_9 Depth=1
	v_add_u32_e32 v4, v82, v3
	v_max_i32_e32 v4, v4, v25
	v_add_u32_e32 v4, v4, v21
	v_sub_u32_e32 v3, v4, v3
	v_cmp_lt_u32_e32 vcc, s21, v3
	s_mov_b64 s[2:3], -1
	s_and_saveexec_b64 s[74:75], vcc
	s_cbranch_execz .LBB18_164
; %bb.161:                              ;   in Loop: Header=BB18_9 Depth=1
	v_lshrrev_b32_e32 v3, 5, v3
	v_add_co_u32_e32 v79, vcc, v50, v30
	v_add_u32_e32 v78, 1, v3
	v_addc_co_u32_e32 v81, vcc, v51, v31, vcc
	v_add_u32_e32 v5, 0x60, v2
	v_add_u32_e32 v4, 64, v2
	v_add_co_u32_e32 v90, vcc, v52, v28
	v_and_b32_e32 v80, 0xffffffc, v78
	v_add_u32_e32 v3, 32, v2
	v_pk_mov_b32 v[6:7], v[4:5], v[4:5] op_sel:[0,1]
	v_addc_co_u32_e32 v91, vcc, v53, v29, vcc
	s_mov_b64 s[76:77], 0
	v_mov_b32_e32 v92, v80
	v_pk_mov_b32 v[4:5], v[2:3], v[2:3] op_sel:[0,1]
.LBB18_162:                             ;   Parent Loop BB18_9 Depth=1
                                        ; =>  This Inner Loop Header: Depth=2
	v_ashrrev_i32_e32 v67, 31, v7
	v_ashrrev_i32_e32 v69, 31, v6
	v_ashrrev_i32_e32 v71, 31, v5
	v_ashrrev_i32_e32 v73, 31, v4
	v_mov_b32_e32 v72, v4
	v_add_co_u32_e32 v32, vcc, v90, v5
	v_add_co_u32_e64 v34, s[2:3], v90, v6
	v_add_co_u32_e64 v36, s[4:5], v90, v7
	;; [unrolled: 1-line block ×3, first 2 shown]
	v_mov_b32_e32 v66, v7
	v_mov_b32_e32 v68, v6
	;; [unrolled: 1-line block ×3, first 2 shown]
	v_addc_co_u32_e64 v39, s[6:7], v91, v73, s[6:7]
	v_addc_co_u32_e32 v33, vcc, v91, v71, vcc
	v_addc_co_u32_e64 v35, vcc, v91, v69, s[2:3]
	v_addc_co_u32_e64 v37, vcc, v91, v67, s[4:5]
	v_lshlrev_b64 v[72:73], 1, v[72:73]
	v_lshlrev_b64 v[70:71], 1, v[70:71]
	;; [unrolled: 1-line block ×4, first 2 shown]
	v_add_co_u32_e32 v72, vcc, v79, v72
	v_add_co_u32_e64 v70, s[2:3], v79, v70
	v_add_co_u32_e64 v68, s[4:5], v79, v68
	;; [unrolled: 1-line block ×3, first 2 shown]
	v_addc_co_u32_e32 v73, vcc, v81, v73, vcc
	v_addc_co_u32_e64 v71, vcc, v81, v71, s[2:3]
	v_addc_co_u32_e64 v69, vcc, v81, v69, s[4:5]
	;; [unrolled: 1-line block ×3, first 2 shown]
	global_load_ushort v3, v[72:73], off
	global_load_ushort v10, v[66:67], off
	;; [unrolled: 1-line block ×4, first 2 shown]
	v_mov_b32_e32 v63, v11
	v_mov_b32_e32 v65, v11
	;; [unrolled: 1-line block ×16, first 2 shown]
	v_add_u32_e32 v92, -4, v92
	v_add_u32_e32 v7, 0x80, v7
	v_add_u32_e32 v6, 0x80, v6
	v_add_u32_e32 v5, 0x80, v5
	v_add_u32_e32 v4, 0x80, v4
	s_waitcnt vmcnt(3)
	v_cvt_f32_f16_e32 v3, v3
	s_waitcnt vmcnt(2)
	v_cvt_f32_f16_e32 v42, v10
	;; [unrolled: 2-line block ×4, first 2 shown]
	v_div_scale_f32 v60, s[4:5], s95, s95, v3
	v_div_scale_f32 v48, s[2:3], s90, s90, v42
	;; [unrolled: 1-line block ×3, first 2 shown]
	v_rcp_f32_e32 v64, v48
	v_div_scale_f32 v56, s[2:3], s81, s81, v10
	v_rcp_f32_e32 v66, v52
	v_rcp_f32_e32 v67, v56
	;; [unrolled: 1-line block ×3, first 2 shown]
	v_fma_f32 v46, -v48, v64, 1.0
	v_div_scale_f32 v50, vcc, v42, s90, v42
	v_fma_f32 v68, -v52, v66, 1.0
	v_fmac_f32_e32 v64, v46, v64
	v_div_scale_f32 v54, s[6:7], v40, s88, v40
	v_fma_f32 v69, -v56, v67, 1.0
	v_fmac_f32_e32 v66, v68, v66
	v_mul_f32_e32 v68, v50, v64
	v_div_scale_f32 v58, s[2:3], v10, s81, v10
	v_fma_f32 v70, -v60, v44, 1.0
	v_fmac_f32_e32 v67, v69, v67
	v_mul_f32_e32 v69, v54, v66
	v_fma_f32 v71, -v48, v68, v50
	v_div_scale_f32 v62, s[4:5], v3, s95, v3
	v_fmac_f32_e32 v44, v70, v44
	v_mul_f32_e32 v70, v58, v67
	v_fma_f32 v72, -v52, v69, v54
	v_fmac_f32_e32 v68, v71, v64
	v_mul_f32_e32 v46, v62, v44
	v_fma_f32 v71, -v56, v70, v58
	v_fmac_f32_e32 v69, v72, v66
	v_fma_f32 v50, -v48, v68, v50
	v_fma_f32 v72, -v60, v46, v62
	v_fmac_f32_e32 v70, v71, v67
	v_fma_f32 v52, -v52, v69, v54
	v_div_fmas_f32 v50, v50, v64, v68
	s_mov_b64 vcc, s[6:7]
	v_fmac_f32_e32 v46, v72, v44
	v_fma_f32 v54, -v56, v70, v58
	v_div_fmas_f32 v52, v52, v66, v69
	s_mov_b64 vcc, s[2:3]
	v_div_fixup_f32 v42, v50, s90, v42
	v_fma_f32 v48, -v60, v46, v62
	v_div_fmas_f32 v54, v54, v67, v70
	v_div_fixup_f32 v40, v52, s88, v40
	v_cvt_f16_f32_e32 v42, v42
	s_mov_b64 vcc, s[4:5]
	v_div_fixup_f32 v10, v54, s81, v10
	v_div_fmas_f32 v44, v48, v44, v46
	v_cvt_f16_f32_e32 v40, v40
	v_div_fixup_f32 v3, v44, s95, v3
	v_cvt_f16_f32_e32 v10, v10
	v_cvt_f16_f32_e32 v3, v3
	v_cvt_f32_f16_e32 v42, v42
	v_cvt_f32_f16_e32 v40, v40
	;; [unrolled: 1-line block ×4, first 2 shown]
	v_bfe_u32 v48, v42, 23, 8
	v_and_b32_e32 v62, 0x7f800000, v42
	v_and_b32_e32 v64, 0x7fffffff, v42
	;; [unrolled: 1-line block ×3, first 2 shown]
	v_bfe_u32 v50, v40, 23, 8
	v_and_b32_e32 v58, 0x7f800000, v40
	v_cmp_ne_u64_e64 s[6:7], s[62:63], v[62:63]
	v_and_b32_e32 v60, 0x7fffffff, v40
	v_cmp_lt_u64_e64 s[8:9], s[68:69], v[64:65]
	v_cmp_gt_u64_e64 s[10:11], s[64:65], v[64:65]
	v_sub_u32_e32 v63, 0x79, v48
	v_cmp_gt_u32_e64 s[20:21], s59, v48
	v_and_b32_sdwa v93, v42, s58 dst_sel:DWORD dst_unused:UNUSED_PAD src0_sel:BYTE_3 src1_sel:DWORD
	v_cmp_eq_u32_e32 vcc, 0, v42
	v_cmp_ne_u32_e64 s[4:5], 0, v42
	v_and_b32_e32 v46, 0x7fffff, v40
	v_add_u32_e32 v62, 0xffffff81, v48
	v_cmp_eq_u32_e64 s[16:17], 0, v48
	v_or_b32_e32 v64, 0x800000, v52
	v_cmp_eq_u64_e64 s[18:19], 0, v[52:53]
	v_bfe_u32 v65, v10, 23, 8
	v_cmp_ne_u64_e64 s[22:23], s[62:63], v[58:59]
	v_and_b32_e32 v54, 0x7f800000, v10
	v_and_b32_e32 v56, 0x7fffffff, v10
	v_cmp_lt_u64_e64 s[24:25], s[68:69], v[60:61]
	v_cmp_gt_u64_e64 s[26:27], s[64:65], v[60:61]
	s_and_b64 s[44:45], s[6:7], s[10:11]
	v_sub_u32_e32 v60, 0x79, v50
	v_cndmask_b32_e64 v61, 0, v63, s[20:21]
	s_and_b64 s[46:47], s[6:7], s[8:9]
	v_cmp_gt_u32_e64 s[8:9], s59, v50
	v_or_b32_sdwa v66, v42, s40 dst_sel:DWORD dst_unused:UNUSED_PAD src0_sel:BYTE_3 src1_sel:DWORD
	v_and_b32_sdwa v3, v40, s58 dst_sel:DWORD dst_unused:UNUSED_PAD src0_sel:BYTE_3 src1_sel:DWORD
	v_or_b32_e32 v68, 0x7e, v93
	v_cmp_eq_u32_e64 s[12:13], 0, v40
	v_cmp_ne_u32_e64 s[14:15], 0, v40
	v_and_b32_e32 v42, 0x7fffff, v10
	v_add_u32_e32 v59, 0xffffff81, v50
	v_cmp_eq_u32_e64 s[30:31], 0, v50
	v_or_b32_e32 v63, 0x800000, v46
	v_cndmask_b32_e64 v62, v62, v88, s[16:17]
	v_cndmask_b32_e64 v74, v64, v52, s[16:17]
	v_cmp_eq_u64_e64 s[6:7], 0, v[46:47]
	v_bfe_u32 v47, v44, 23, 8
	v_and_b32_e32 v48, 0x7f800000, v44
	v_cmp_ne_u64_e64 s[20:21], s[62:63], v[54:55]
	v_and_b32_e32 v50, 0x7fffffff, v44
	v_cmp_lt_u64_e64 s[34:35], s[68:69], v[56:57]
	v_cmp_gt_u64_e64 s[36:37], s[64:65], v[56:57]
	s_and_b64 s[92:93], s[22:23], s[26:27]
	s_and_b64 s[78:79], s[44:45], s[4:5]
	v_sub_u32_e32 v55, 0x79, v65
	v_cndmask_b32_e64 v56, 0, v60, s[8:9]
	v_cndmask_b32_e64 v76, v61, v89, s[16:17]
	s_and_b64 s[82:83], s[22:23], s[24:25]
	s_or_b64 s[16:17], s[46:47], s[18:19]
	s_and_b64 s[44:45], s[44:45], vcc
	v_cmp_gt_u32_e32 vcc, s59, v65
	v_or_b32_sdwa v40, v40, s40 dst_sel:DWORD dst_unused:UNUSED_PAD src0_sel:BYTE_3 src1_sel:DWORD
	v_and_b32_sdwa v53, v10, s58 dst_sel:DWORD dst_unused:UNUSED_PAD src0_sel:BYTE_3 src1_sel:DWORD
	v_or_b32_e32 v58, 0x7e, v3
	v_cmp_eq_u32_e64 s[10:11], 0, v10
	v_cmp_ne_u32_e64 s[28:29], 0, v10
	v_or_b32_sdwa v64, v10, s40 dst_sel:DWORD dst_unused:UNUSED_PAD src0_sel:BYTE_3 src1_sel:DWORD
	v_and_b32_e32 v10, 0x7fffff, v44
	v_add_u32_e32 v54, 0xffffff81, v65
	v_cmp_eq_u32_e64 s[4:5], 0, v65
	v_or_b32_e32 v57, 0x800000, v42
	v_cndmask_b32_e64 v94, v59, v88, s[30:31]
	v_cndmask_b32_e64 v70, v63, v46, s[30:31]
	v_cmp_eq_u64_e64 s[8:9], 0, v[42:43]
	v_cndmask_b32_e64 v46, v66, v68, s[16:17]
	v_cmp_ne_u64_e64 s[16:17], s[62:63], v[48:49]
	v_cmp_lt_u64_e64 s[18:19], s[68:69], v[50:51]
	v_cmp_gt_u64_e64 s[22:23], s[64:65], v[50:51]
	s_and_b64 s[24:25], s[92:93], s[14:15]
	v_add_u32_e32 v48, 0xffffff81, v47
	v_cmp_eq_u32_e64 s[14:15], 0, v47
	v_sub_u32_e32 v49, 0x79, v47
	v_cndmask_b32_e32 v50, 0, v55, vcc
	v_cndmask_b32_e64 v66, v56, v89, s[30:31]
	v_add_u32_e32 v56, 20, v76
	s_and_b64 s[30:31], s[20:21], s[34:35]
	s_or_b64 s[6:7], s[82:83], s[6:7]
	s_and_b64 s[34:35], s[92:93], s[12:13]
	v_cmp_gt_u32_e64 s[12:13], s59, v47
	v_mov_b32_e32 v71, v11
	v_and_b32_sdwa v52, v44, s58 dst_sel:DWORD dst_unused:UNUSED_PAD src0_sel:BYTE_3 src1_sel:DWORD
	v_or_b32_e32 v72, 0x7e, v53
	v_cmp_eq_u32_e64 s[26:27], 0, v44
	v_cmp_ne_u32_e64 s[38:39], 0, v44
	v_or_b32_sdwa v63, v44, s40 dst_sel:DWORD dst_unused:UNUSED_PAD src0_sel:BYTE_3 src1_sel:DWORD
	s_and_b64 s[36:37], s[20:21], s[36:37]
	v_or_b32_e32 v51, 0x800000, v10
	v_cndmask_b32_e64 v55, v54, v88, s[4:5]
	v_cndmask_b32_e64 v44, v57, v42, s[4:5]
	v_lshrrev_b64 v[42:43], v76, v[74:75]
	v_cmp_eq_u64_e32 vcc, 0, v[10:11]
	v_cndmask_b32_e64 v58, v40, v58, s[6:7]
	v_cndmask_b32_e64 v59, 0, v49, s[12:13]
	v_cndmask_b32_e64 v75, v48, v88, s[14:15]
	v_cndmask_b32_e64 v68, v50, v89, s[4:5]
	v_add_u32_e32 v50, 20, v66
	v_lshlrev_b64 v[48:49], v56, -1
	s_and_b64 s[12:13], s[16:17], s[18:19]
	s_or_b64 s[4:5], s[30:31], s[8:9]
	v_or_b32_e32 v65, 0x7e, v52
	v_add_u32_e32 v57, 19, v76
	v_cndmask_b32_e64 v54, v46, 0, s[44:45]
	s_and_b64 s[6:7], s[16:17], s[22:23]
	v_cndmask_b32_e64 v40, v51, v10, s[14:15]
	v_lshrrev_b64 v[46:47], v66, v[70:71]
	v_lshrrev_b32_e32 v51, 23, v42
	s_and_b64 s[8:9], s[36:37], s[10:11]
	v_cndmask_b32_e64 v64, v64, v72, s[4:5]
	v_cndmask_b32_e64 v10, v58, 0, s[34:35]
	;; [unrolled: 1-line block ×3, first 2 shown]
	v_lshlrev_b64 v[58:59], v50, -1
	v_not_b32_e32 v48, v48
	s_or_b64 vcc, s[12:13], vcc
	v_add_u32_e32 v49, 19, v66
	v_lshlrev_b64 v[56:57], v57, 1
	v_bfe_u32 v71, v42, 20, 1
	v_add_u32_e32 v72, 20, v68
	v_add_u32_e32 v96, 19, v68
	v_add3_u32 v62, v76, v62, v51
	v_lshrrev_b64 v[50:51], v68, v[44:45]
	v_and_b32_e32 v76, v74, v48
	v_lshrrev_b32_e32 v74, 23, v46
	s_and_b64 s[4:5], s[6:7], s[26:27]
	v_cndmask_b32_e32 v63, v63, v65, vcc
	v_cndmask_b32_e64 v45, v64, 0, s[8:9]
	v_add_u32_e32 v64, 20, v95
	v_not_b32_e32 v65, v58
	v_lshlrev_b64 v[60:61], v49, 1
	v_bfe_u32 v97, v46, 20, 1
	v_add_u32_e32 v71, -1, v71
	v_lshlrev_b64 v[58:59], v72, -1
	v_cmp_eq_u64_e32 vcc, v[76:77], v[56:57]
	v_lshlrev_b64 v[56:57], v96, 1
	v_lshrrev_b64 v[48:49], v95, v[40:41]
	v_add3_u32 v66, v66, v94, v74
	v_lshrrev_b32_e32 v74, 23, v50
	v_add_u32_e32 v76, 6, v62
	v_bfe_u32 v77, v50, 20, 1
	v_add_u32_e32 v96, 7, v62
	v_and_b32_e32 v72, v70, v65
	v_cndmask_b32_e64 v41, v63, 0, s[4:5]
	v_lshlrev_b64 v[62:63], v64, -1
	s_and_b64 s[16:17], s[6:7], s[38:39]
	v_add_u32_e32 v94, -1, v97
	v_not_b32_e32 v63, v58
	v_add3_u32 v55, v68, v55, v74
	v_add_u32_e32 v65, 6, v66
	v_add_u32_e32 v74, -1, v77
	v_add_u32_e32 v77, 7, v66
	v_cndmask_b32_e32 v66, 0, v71, vcc
	v_cmp_eq_u64_e64 s[6:7], v[72:73], v[60:61]
	v_mov_b32_e32 v69, v11
	v_cmp_ne_u32_e64 s[4:5], 0, v76
	v_and_b32_e32 v68, v44, v63
	v_add_u32_e32 v63, 6, v55
	v_cndmask_b32_e64 v60, 0, v94, s[6:7]
	v_add_u32_e32 v61, v66, v42
	s_and_b64 s[20:21], s[36:37], s[28:29]
	v_add_u32_e32 v59, 19, v95
	v_not_b32_e32 v62, v62
	v_cmp_ne_u32_e64 s[8:9], 0, v65
	s_and_b64 vcc, s[78:79], s[4:5]
	v_cmp_eq_u64_e64 s[4:5], v[68:69], v[56:57]
	v_cmp_ne_u32_e64 s[10:11], 0, v63
	v_add_u32_e32 v57, v60, v46
	v_and_b32_e32 v60, 0xfffff, v61
	v_mov_b32_e32 v67, v11
	v_lshlrev_b64 v[58:59], v59, 1
	v_lshrrev_b32_e32 v64, 23, v48
	v_bfe_u32 v70, v48, 20, 1
	v_and_b32_e32 v66, v40, v62
	s_and_b64 s[6:7], s[24:25], s[8:9]
	s_and_b64 s[8:9], s[20:21], s[10:11]
	v_add_co_u32_e64 v42, s[10:11], v60, v42
	v_add3_u32 v44, v95, v75, v64
	v_add_u32_e32 v64, -1, v70
	v_cndmask_b32_e64 v56, 0, v74, s[4:5]
	v_cmp_eq_u64_e64 s[4:5], v[66:67], v[58:59]
	v_and_b32_e32 v57, 0xfffff, v57
	v_addc_co_u32_e64 v43, s[10:11], 0, v43, s[10:11]
	v_add_u32_e32 v40, 6, v44
	v_cndmask_b32_e64 v58, 0, v64, s[4:5]
	v_add_u32_e32 v56, v56, v50
	v_add_co_u32_e64 v46, s[10:11], v57, v46
	v_cmp_ne_u32_e64 s[12:13], 0, v40
	v_add_u32_e32 v58, v58, v48
	v_and_b32_e32 v56, 0xfffff, v56
	v_addc_co_u32_e64 v47, s[10:11], 0, v47, s[10:11]
	s_and_b64 s[4:5], s[16:17], s[12:13]
	v_cmp_lt_u64_e64 s[10:11], s[66:67], v[42:43]
	v_and_b32_e32 v58, 0xfffff, v58
	v_add_co_u32_e64 v50, s[12:13], v56, v50
	v_bfe_u32 v57, v42, 23, 1
	v_cndmask_b32_e64 v59, v76, v96, s[10:11]
	v_addc_co_u32_e64 v51, s[12:13], 0, v51, s[12:13]
	s_and_b64 s[14:15], vcc, s[10:11]
	v_add_co_u32_e64 v48, s[10:11], v58, v48
	v_cmp_lt_u64_e64 s[12:13], s[66:67], v[46:47]
	v_cndmask_b32_e32 v57, v57, v59, vcc
	v_addc_co_u32_e64 v49, vcc, 0, v49, s[10:11]
	v_add_u32_e32 v55, 7, v55
	v_bfe_u32 v56, v46, 23, 1
	v_cndmask_b32_e64 v60, v65, v77, s[12:13]
	v_cndmask_b32_e64 v59, 0, 1, s[14:15]
	v_cmp_lt_u64_e32 vcc, s[66:67], v[50:51]
	s_and_b64 s[10:11], s[6:7], s[12:13]
	v_add_u32_e32 v44, 7, v44
	v_bfe_u32 v58, v50, 23, 1
	v_cndmask_b32_e32 v55, v63, v55, vcc
	v_cndmask_b32_e64 v56, v56, v60, s[6:7]
	v_cndmask_b32_e64 v60, 0, 1, s[10:11]
	v_lshrrev_b64 v[42:43], v59, v[42:43]
	v_cmp_lt_u64_e64 s[10:11], s[66:67], v[48:49]
	s_and_b64 s[12:13], s[8:9], vcc
	v_cmp_gt_i32_e32 vcc, 16, v57
	v_cndmask_b32_e64 v40, v40, v44, s[10:11]
	v_cndmask_b32_e64 v44, v58, v55, s[8:9]
	;; [unrolled: 1-line block ×3, first 2 shown]
	v_lshrrev_b64 v[46:47], v60, v[46:47]
	v_lshrrev_b64 v[42:43], 20, v[42:43]
	s_and_b64 s[12:13], s[4:5], s[10:11]
	v_bfe_u32 v61, v48, 23, 1
	v_cmp_eq_u32_e64 s[6:7], 0, v57
	v_min_i32_e32 v59, 15, v57
	v_cmp_eq_u32_e64 s[8:9], 0, v56
	v_min_i32_e32 v57, 15, v56
	v_cmp_gt_i32_e64 s[10:11], 16, v56
	v_cndmask_b32_e64 v56, 0, 1, s[12:13]
	v_lshrrev_b64 v[50:51], v55, v[50:51]
	v_lshrrev_b64 v[46:47], 20, v[46:47]
	v_cndmask_b32_e32 v43, 0, v43, vcc
	v_cndmask_b32_e32 v42, 7, v42, vcc
	v_lshl_or_b32 v58, v59, 3, v93
	v_cndmask_b32_e64 v40, v61, v40, s[4:5]
	v_cmp_gt_i32_e64 s[4:5], 16, v44
	v_lshrrev_b64 v[48:49], v56, v[48:49]
	v_lshrrev_b64 v[50:51], 20, v[50:51]
	v_cndmask_b32_e64 v47, 0, v47, s[10:11]
	v_cndmask_b32_e64 v46, 7, v46, s[10:11]
	v_cmp_eq_u64_e64 s[12:13], 0, v[42:43]
	v_and_or_b32 v56, v42, 7, v58
	v_cmp_gt_i32_e64 s[14:15], 16, v40
	v_lshrrev_b64 v[42:43], 20, v[48:49]
	v_cndmask_b32_e64 v49, 0, v51, s[4:5]
	v_cndmask_b32_e64 v48, 7, v50, s[4:5]
	v_cmp_eq_u64_e64 s[4:5], 0, v[46:47]
	s_and_b64 s[12:13], s[6:7], s[12:13]
	v_cmp_eq_u32_e32 vcc, 0, v44
	v_cndmask_b32_e64 v43, 0, v43, s[14:15]
	v_cndmask_b32_e64 v42, 7, v42, s[14:15]
	v_cmp_eq_u64_e64 s[6:7], 0, v[48:49]
	s_and_b64 s[8:9], s[8:9], s[4:5]
	s_xor_b64 s[14:15], s[12:13], -1
	s_and_b64 s[4:5], s[78:79], s[12:13]
	v_min_i32_e32 v55, 15, v44
	v_lshl_or_b32 v57, v57, 3, v3
	v_cmp_eq_u32_e64 s[10:11], 0, v40
	v_min_i32_e32 v44, 15, v40
	v_cndmask_b32_e64 v47, v54, v93, s[4:5]
	v_cmp_eq_u64_e64 s[4:5], 0, v[42:43]
	s_and_b64 s[12:13], vcc, s[6:7]
	s_xor_b64 s[18:19], s[8:9], -1
	s_and_b64 vcc, s[24:25], s[8:9]
	s_and_b64 s[6:7], s[78:79], s[14:15]
	v_lshl_or_b32 v55, v55, 3, v53
	v_lshl_or_b32 v40, v44, 3, v52
	v_and_or_b32 v44, v46, 7, v57
	v_cndmask_b32_e32 v3, v10, v3, vcc
	v_cndmask_b32_e64 v10, v47, v56, s[6:7]
	s_and_b64 s[6:7], s[10:11], s[4:5]
	s_xor_b64 s[8:9], s[12:13], -1
	s_and_b64 vcc, s[20:21], s[12:13]
	s_and_b64 s[4:5], s[24:25], s[18:19]
	v_and_or_b32 v46, v48, 7, v55
	v_and_or_b32 v40, v42, 7, v40
	v_cndmask_b32_e32 v42, v45, v53, vcc
	v_lshlrev_b16_e32 v10, 8, v10
	v_cndmask_b32_e64 v3, v3, v44, s[4:5]
	s_and_b64 s[4:5], s[20:21], s[8:9]
	s_xor_b64 s[10:11], s[6:7], -1
	s_and_b64 vcc, s[16:17], s[6:7]
	v_or_b32_sdwa v3, v3, v10 dst_sel:DWORD dst_unused:UNUSED_PAD src0_sel:BYTE_0 src1_sel:DWORD
	v_cndmask_b32_e64 v10, v42, v46, s[4:5]
	v_cmp_eq_u32_e64 s[2:3], 0, v92
	v_cndmask_b32_e32 v41, v41, v52, vcc
	s_and_b64 vcc, s[16:17], s[10:11]
	v_lshlrev_b16_e32 v10, 8, v10
	v_cndmask_b32_e32 v40, v41, v40, vcc
	s_or_b64 s[76:77], s[2:3], s[76:77]
	v_lshrrev_b32_e32 v10, 8, v10
	v_lshrrev_b32_e32 v41, 8, v3
	global_store_byte v[38:39], v40, off
	global_store_byte v[32:33], v10, off
	;; [unrolled: 1-line block ×4, first 2 shown]
	s_andn2_b64 exec, exec, s[76:77]
	s_cbranch_execnz .LBB18_162
; %bb.163:                              ;   in Loop: Header=BB18_9 Depth=1
	s_or_b64 exec, exec, s[76:77]
	v_cmp_ne_u32_e32 vcc, v78, v80
	v_lshl_add_u32 v2, v80, 5, v2
	s_orn2_b64 s[2:3], vcc, exec
	v_readlane_b32 s92, v99, 25
	v_readlane_b32 s93, v99, 26
	s_mul_i32 s20, s57, s84
	s_movk_i32 s21, 0x5f
.LBB18_164:                             ;   in Loop: Header=BB18_9 Depth=1
	s_or_b64 exec, exec, s[74:75]
	s_and_b64 exec, exec, s[2:3]
	s_cbranch_execz .LBB18_183
; %bb.165:                              ;   in Loop: Header=BB18_9 Depth=1
	v_ashrrev_i32_e32 v3, 31, v2
	v_lshlrev_b64 v[4:5], 1, v[2:3]
	v_add_co_u32_e32 v4, vcc, v30, v4
	v_addc_co_u32_e32 v5, vcc, v31, v5, vcc
	v_add_co_u32_e32 v4, vcc, v4, v22
	v_readlane_b32 s2, v99, 21
	v_addc_co_u32_e32 v5, vcc, v5, v23, vcc
	v_mov_b32_e32 v6, s2
	v_readlane_b32 s2, v99, 22
	v_add_co_u32_e32 v4, vcc, s2, v4
	v_addc_co_u32_e32 v5, vcc, v6, v5, vcc
	v_add_co_u32_e32 v6, vcc, v28, v2
	v_addc_co_u32_e32 v3, vcc, v29, v3, vcc
	;; [unrolled: 2-line block ×3, first 2 shown]
	s_mov_b64 s[4:5], 0
	s_branch .LBB18_167
.LBB18_166:                             ;   in Loop: Header=BB18_167 Depth=2
	s_or_b64 exec, exec, s[2:3]
	v_add_co_u32_e32 v4, vcc, 64, v4
	v_add_u32_e32 v2, 32, v2
	v_addc_co_u32_e32 v5, vcc, 0, v5, vcc
	v_cmp_ge_i32_e32 vcc, v2, v25
	global_store_byte v[6:7], v29, off
	s_or_b64 s[4:5], vcc, s[4:5]
	v_add_co_u32_e32 v6, vcc, 32, v6
	v_addc_co_u32_e32 v7, vcc, 0, v7, vcc
	s_andn2_b64 exec, exec, s[4:5]
	s_cbranch_execz .LBB18_183
.LBB18_167:                             ;   Parent Loop BB18_9 Depth=1
                                        ; =>  This Inner Loop Header: Depth=2
	global_load_ushort v3, v[4:5], off
	s_waitcnt vmcnt(0)
	v_cvt_f32_f16_e32 v3, v3
	v_div_scale_f32 v10, s[2:3], s95, s95, v3
	v_rcp_f32_e32 v28, v10
	v_div_scale_f32 v29, vcc, v3, s95, v3
	v_fma_f32 v30, -v10, v28, 1.0
	v_fmac_f32_e32 v28, v30, v28
	v_mul_f32_e32 v30, v29, v28
	v_fma_f32 v31, -v10, v30, v29
	v_fmac_f32_e32 v30, v31, v28
	v_fma_f32 v10, -v10, v30, v29
	v_div_fmas_f32 v10, v10, v28, v30
	v_div_fixup_f32 v3, v10, s95, v3
	v_cvt_f16_f32_e32 v3, v3
	v_mov_b32_e32 v31, v11
	v_cvt_f32_f16_e32 v28, v3
	v_and_b32_sdwa v3, v28, s58 dst_sel:DWORD dst_unused:UNUSED_PAD src0_sel:BYTE_3 src1_sel:DWORD
	v_and_b32_e32 v30, 0x7f800000, v28
	v_and_b32_e32 v10, 0x7fffff, v28
	v_or_b32_e32 v29, 0x7e, v3
	v_cmp_ne_u64_e32 vcc, s[62:63], v[30:31]
	s_and_saveexec_b64 s[2:3], vcc
	s_xor_b64 s[6:7], exec, s[2:3]
	s_cbranch_execz .LBB18_181
; %bb.168:                              ;   in Loop: Header=BB18_167 Depth=2
	v_and_b32_e32 v30, 0x7fffffff, v28
	v_mov_b32_e32 v31, v11
	v_cmp_gt_u64_e32 vcc, s[64:65], v[30:31]
	s_and_saveexec_b64 s[2:3], vcc
	s_xor_b64 s[8:9], exec, s[2:3]
	s_cbranch_execz .LBB18_180
; %bb.169:                              ;   in Loop: Header=BB18_167 Depth=2
	v_cmp_ne_u32_e32 vcc, 0, v28
	v_mov_b32_e32 v29, 0
	s_and_saveexec_b64 s[10:11], vcc
	s_cbranch_execz .LBB18_179
; %bb.170:                              ;   in Loop: Header=BB18_167 Depth=2
	v_bfe_u32 v28, v28, 23, 8
	v_sub_u32_e32 v30, 0x79, v28
	v_cmp_gt_u32_e32 vcc, s59, v28
	v_cndmask_b32_e32 v30, 0, v30, vcc
	v_cmp_eq_u32_e32 vcc, 0, v28
	v_cndmask_b32_e32 v30, v30, v89, vcc
	v_add_u32_e32 v29, 0xffffff81, v28
	v_or_b32_e32 v31, 0x800000, v10
	v_add_u32_e32 v28, 20, v30
	v_cndmask_b32_e32 v36, v29, v88, vcc
	v_cndmask_b32_e32 v10, v31, v10, vcc
	v_lshlrev_b64 v[28:29], v28, -1
	v_not_b32_e32 v28, v28
	v_lshrrev_b64 v[34:35], v30, v[10:11]
	v_not_b32_e32 v29, v29
	v_and_b32_e32 v28, v10, v28
	v_add_u32_e32 v31, 19, v30
	v_lshrrev_b32_e32 v10, 23, v34
	v_and_b32_e32 v29, 0, v29
	v_lshlrev_b64 v[32:33], v31, 1
	v_add3_u32 v31, v30, v36, v10
	v_bfe_u32 v10, v34, 20, 1
	v_add_u32_e32 v10, -1, v10
	v_cmp_eq_u64_e32 vcc, v[28:29], v[32:33]
	v_cndmask_b32_e32 v10, 0, v10, vcc
	v_add_u32_e32 v10, v10, v34
	v_and_b32_e32 v10, 0xfffff, v10
	v_add_co_u32_e32 v28, vcc, v10, v34
	v_add_u32_e32 v30, 6, v31
	v_addc_co_u32_e32 v29, vcc, 0, v35, vcc
	v_cmp_ne_u32_e32 vcc, 0, v30
                                        ; implicit-def: $vgpr10
	s_and_saveexec_b64 s[2:3], vcc
	s_xor_b64 s[2:3], exec, s[2:3]
; %bb.171:                              ;   in Loop: Header=BB18_167 Depth=2
	v_add_u32_e32 v10, 7, v31
	v_cmp_lt_u64_e32 vcc, s[66:67], v[28:29]
	v_cndmask_b32_e32 v10, v30, v10, vcc
	v_cndmask_b32_e64 v30, 0, 1, vcc
	v_lshrrev_b64 v[28:29], v30, v[28:29]
; %bb.172:                              ;   in Loop: Header=BB18_167 Depth=2
	s_andn2_saveexec_b64 s[2:3], s[2:3]
; %bb.173:                              ;   in Loop: Header=BB18_167 Depth=2
	v_bfe_u32 v10, v28, 23, 1
; %bb.174:                              ;   in Loop: Header=BB18_167 Depth=2
	s_or_b64 exec, exec, s[2:3]
	v_lshrrev_b64 v[28:29], 20, v[28:29]
	v_cmp_gt_i32_e32 vcc, 16, v10
	v_cndmask_b32_e32 v29, 0, v29, vcc
	v_cndmask_b32_e32 v28, 7, v28, vcc
	v_cmp_ne_u32_e32 vcc, 0, v10
	v_cmp_ne_u64_e64 s[2:3], 0, v[28:29]
	s_or_b64 s[2:3], vcc, s[2:3]
                                        ; implicit-def: $vgpr29
	s_and_saveexec_b64 s[12:13], s[2:3]
	s_xor_b64 s[2:3], exec, s[12:13]
; %bb.175:                              ;   in Loop: Header=BB18_167 Depth=2
	v_min_i32_e32 v10, 15, v10
	v_lshl_or_b32 v3, v10, 3, v3
	v_and_or_b32 v29, v28, 7, v3
                                        ; implicit-def: $vgpr3
; %bb.176:                              ;   in Loop: Header=BB18_167 Depth=2
	s_andn2_saveexec_b64 s[2:3], s[2:3]
; %bb.177:                              ;   in Loop: Header=BB18_167 Depth=2
	v_mov_b32_e32 v29, v3
; %bb.178:                              ;   in Loop: Header=BB18_167 Depth=2
	s_or_b64 exec, exec, s[2:3]
.LBB18_179:                             ;   in Loop: Header=BB18_167 Depth=2
	s_or_b64 exec, exec, s[10:11]
.LBB18_180:                             ;   in Loop: Header=BB18_167 Depth=2
	s_andn2_saveexec_b64 s[2:3], s[8:9]
	s_or_b64 exec, exec, s[2:3]
                                        ; implicit-def: $vgpr28
.LBB18_181:                             ;   in Loop: Header=BB18_167 Depth=2
	s_andn2_saveexec_b64 s[2:3], s[6:7]
	s_cbranch_execz .LBB18_166
; %bb.182:                              ;   in Loop: Header=BB18_167 Depth=2
	v_or_b32_sdwa v3, v28, s40 dst_sel:DWORD dst_unused:UNUSED_PAD src0_sel:BYTE_3 src1_sel:DWORD
	v_cmp_eq_u64_e32 vcc, 0, v[10:11]
	v_cndmask_b32_e32 v29, v3, v29, vcc
	s_branch .LBB18_166
.LBB18_183:                             ;   in Loop: Header=BB18_9 Depth=1
	s_or_b64 exec, exec, s[72:73]
.LBB18_184:                             ;   in Loop: Header=BB18_9 Depth=1
	s_andn2_saveexec_b64 s[4:5], s[70:71]
	s_cbranch_execz .LBB18_317
; %bb.185:                              ;   in Loop: Header=BB18_9 Depth=1
	s_and_saveexec_b64 s[6:7], s[0:1]
	s_cbranch_execz .LBB18_316
; %bb.186:                              ;   in Loop: Header=BB18_9 Depth=1
	v_add_co_u32_e32 v6, vcc, v83, v22
	v_addc_co_u32_e32 v7, vcc, v84, v23, vcc
	s_mov_b64 s[8:9], 0
	v_pk_mov_b32 v[28:29], v[12:13], v[12:13] op_sel:[0,1]
	v_mov_b32_e32 v25, v8
	s_branch .LBB18_188
.LBB18_187:                             ;   in Loop: Header=BB18_188 Depth=2
	s_or_b64 exec, exec, s[2:3]
	v_lshlrev_b32_e32 v4, 16, v40
	v_lshlrev_b32_e32 v3, 24, v42
	v_and_b32_e32 v4, 0xff0000, v4
	v_or_b32_e32 v3, v3, v4
	v_lshlrev_b32_e32 v4, 8, v38
	v_and_b32_e32 v4, 0xff00, v4
	v_and_b32_e32 v5, 0xff, v36
	v_or3_b32 v3, v3, v4, v5
	v_lshlrev_b32_e32 v4, 16, v34
	v_lshlrev_b32_e32 v5, 8, v32
	v_perm_b32 v2, v2, v4, s42
	v_and_or_b32 v2, v5, s41, v2
	v_or_b32_sdwa v2, v2, v30 dst_sel:DWORD dst_unused:UNUSED_PAD src0_sel:DWORD src1_sel:BYTE_0
	global_store_dwordx2 v[28:29], v[2:3], off
	v_add_co_u32_e32 v28, vcc, 0x100, v28
	v_add_u32_e32 v25, 32, v25
	v_addc_co_u32_e32 v29, vcc, 0, v29, vcc
	v_add_co_u32_e32 v6, vcc, 0x200, v6
	v_cmp_le_i32_e64 s[2:3], s85, v25
	s_or_b64 s[8:9], s[2:3], s[8:9]
	v_addc_co_u32_e32 v7, vcc, 0, v7, vcc
	s_andn2_b64 exec, exec, s[8:9]
	s_cbranch_execz .LBB18_316
.LBB18_188:                             ;   Parent Loop BB18_9 Depth=1
                                        ; =>  This Inner Loop Header: Depth=2
	global_load_dwordx4 v[2:5], v[6:7], off
	v_mov_b32_e32 v35, v11
	s_waitcnt vmcnt(0)
	v_cvt_f32_f16_e32 v10, v2
	v_div_scale_f32 v30, s[2:3], s95, s95, v10
	v_rcp_f32_e32 v31, v30
	v_div_scale_f32 v32, vcc, v10, s95, v10
	v_fma_f32 v33, -v30, v31, 1.0
	v_fmac_f32_e32 v31, v33, v31
	v_mul_f32_e32 v33, v32, v31
	v_fma_f32 v34, -v30, v33, v32
	v_fmac_f32_e32 v33, v34, v31
	v_fma_f32 v30, -v30, v33, v32
	v_div_fmas_f32 v30, v30, v31, v33
	v_div_fixup_f32 v10, v30, s95, v10
	v_cvt_f16_f32_e32 v10, v10
	v_cvt_f32_f16_e32 v33, v10
	v_and_b32_sdwa v32, v33, s58 dst_sel:DWORD dst_unused:UNUSED_PAD src0_sel:BYTE_3 src1_sel:DWORD
	v_and_b32_e32 v34, 0x7f800000, v33
	v_and_b32_e32 v10, 0x7fffff, v33
	v_or_b32_e32 v30, 0x7e, v32
	v_cmp_ne_u64_e32 vcc, s[62:63], v[34:35]
	s_and_saveexec_b64 s[2:3], vcc
	s_xor_b64 s[10:11], exec, s[2:3]
	s_cbranch_execz .LBB18_202
; %bb.189:                              ;   in Loop: Header=BB18_188 Depth=2
	v_and_b32_e32 v34, 0x7fffffff, v33
	v_mov_b32_e32 v35, v11
	v_cmp_gt_u64_e32 vcc, s[64:65], v[34:35]
	s_and_saveexec_b64 s[2:3], vcc
	s_xor_b64 s[12:13], exec, s[2:3]
	s_cbranch_execz .LBB18_201
; %bb.190:                              ;   in Loop: Header=BB18_188 Depth=2
	v_cmp_ne_u32_e32 vcc, 0, v33
	v_pk_mov_b32 v[30:31], 0, 0
	s_and_saveexec_b64 s[14:15], vcc
	s_cbranch_execz .LBB18_200
; %bb.191:                              ;   in Loop: Header=BB18_188 Depth=2
	v_bfe_u32 v30, v33, 23, 8
	v_sub_u32_e32 v33, 0x79, v30
	v_cmp_gt_u32_e32 vcc, s59, v30
	v_cndmask_b32_e32 v33, 0, v33, vcc
	v_cmp_eq_u32_e32 vcc, 0, v30
	v_cndmask_b32_e32 v33, v33, v89, vcc
	v_add_u32_e32 v31, 0xffffff81, v30
	v_or_b32_e32 v34, 0x800000, v10
	v_add_u32_e32 v30, 20, v33
	v_cndmask_b32_e32 v35, v31, v88, vcc
	v_cndmask_b32_e32 v10, v34, v10, vcc
	v_lshlrev_b64 v[30:31], v30, -1
	v_not_b32_e32 v30, v30
	v_lshrrev_b64 v[38:39], v33, v[10:11]
	v_not_b32_e32 v31, v31
	v_and_b32_e32 v30, v10, v30
	v_add_u32_e32 v34, 19, v33
	v_lshrrev_b32_e32 v10, 23, v38
	v_and_b32_e32 v31, 0, v31
	v_lshlrev_b64 v[36:37], v34, 1
	v_add3_u32 v34, v33, v35, v10
	v_bfe_u32 v10, v38, 20, 1
	v_add_u32_e32 v10, -1, v10
	v_cmp_eq_u64_e32 vcc, v[30:31], v[36:37]
	v_cndmask_b32_e32 v10, 0, v10, vcc
	v_add_u32_e32 v10, v10, v38
	v_and_b32_e32 v10, 0xfffff, v10
	v_add_co_u32_e32 v30, vcc, v10, v38
	v_add_u32_e32 v33, 6, v34
	v_addc_co_u32_e32 v31, vcc, 0, v39, vcc
	v_cmp_ne_u32_e32 vcc, 0, v33
                                        ; implicit-def: $vgpr10
	s_and_saveexec_b64 s[2:3], vcc
	s_xor_b64 s[2:3], exec, s[2:3]
; %bb.192:                              ;   in Loop: Header=BB18_188 Depth=2
	v_add_u32_e32 v10, 7, v34
	v_cmp_lt_u64_e32 vcc, s[66:67], v[30:31]
	v_cndmask_b32_e32 v10, v33, v10, vcc
	v_cndmask_b32_e64 v33, 0, 1, vcc
	v_lshrrev_b64 v[30:31], v33, v[30:31]
; %bb.193:                              ;   in Loop: Header=BB18_188 Depth=2
	s_andn2_saveexec_b64 s[2:3], s[2:3]
; %bb.194:                              ;   in Loop: Header=BB18_188 Depth=2
	v_bfe_u32 v10, v30, 23, 1
; %bb.195:                              ;   in Loop: Header=BB18_188 Depth=2
	s_or_b64 exec, exec, s[2:3]
	v_lshrrev_b64 v[30:31], 20, v[30:31]
	v_cmp_gt_i32_e32 vcc, 16, v10
	v_cndmask_b32_e32 v35, 0, v31, vcc
	v_cndmask_b32_e32 v34, 7, v30, vcc
	v_cmp_ne_u32_e32 vcc, 0, v10
	v_cmp_ne_u64_e64 s[2:3], 0, v[34:35]
	s_or_b64 s[2:3], vcc, s[2:3]
                                        ; implicit-def: $vgpr30_vgpr31
	s_and_saveexec_b64 s[16:17], s[2:3]
	s_xor_b64 s[2:3], exec, s[16:17]
; %bb.196:                              ;   in Loop: Header=BB18_188 Depth=2
	v_min_i32_e32 v10, 15, v10
	v_lshl_or_b32 v10, v10, 3, v32
	v_and_or_b32 v30, v34, 7, v10
                                        ; implicit-def: $vgpr32
; %bb.197:                              ;   in Loop: Header=BB18_188 Depth=2
	s_andn2_saveexec_b64 s[2:3], s[2:3]
; %bb.198:                              ;   in Loop: Header=BB18_188 Depth=2
	v_pk_mov_b32 v[30:31], v[32:33], v[32:33] op_sel:[0,1]
; %bb.199:                              ;   in Loop: Header=BB18_188 Depth=2
	s_or_b64 exec, exec, s[2:3]
.LBB18_200:                             ;   in Loop: Header=BB18_188 Depth=2
	s_or_b64 exec, exec, s[14:15]
.LBB18_201:                             ;   in Loop: Header=BB18_188 Depth=2
	s_andn2_saveexec_b64 s[2:3], s[12:13]
	s_or_b64 exec, exec, s[2:3]
                                        ; implicit-def: $vgpr33
.LBB18_202:                             ;   in Loop: Header=BB18_188 Depth=2
	s_andn2_saveexec_b64 s[2:3], s[10:11]
; %bb.203:                              ;   in Loop: Header=BB18_188 Depth=2
	v_or_b32_sdwa v31, v33, s40 dst_sel:DWORD dst_unused:UNUSED_PAD src0_sel:BYTE_3 src1_sel:DWORD
	v_cmp_eq_u64_e32 vcc, 0, v[10:11]
	v_cndmask_b32_e32 v30, v31, v30, vcc
; %bb.204:                              ;   in Loop: Header=BB18_188 Depth=2
	s_or_b64 exec, exec, s[2:3]
	v_cvt_f32_f16_sdwa v2, v2 dst_sel:DWORD dst_unused:UNUSED_PAD src0_sel:WORD_1
	v_mov_b32_e32 v35, v11
	v_div_scale_f32 v10, s[2:3], s95, s95, v2
	v_rcp_f32_e32 v31, v10
	v_div_scale_f32 v32, vcc, v2, s95, v2
	v_fma_f32 v33, -v10, v31, 1.0
	v_fmac_f32_e32 v31, v33, v31
	v_mul_f32_e32 v33, v32, v31
	v_fma_f32 v34, -v10, v33, v32
	v_fmac_f32_e32 v33, v34, v31
	v_fma_f32 v10, -v10, v33, v32
	v_div_fmas_f32 v10, v10, v31, v33
	v_div_fixup_f32 v2, v10, s95, v2
	v_cvt_f16_f32_e32 v2, v2
	v_cvt_f32_f16_e32 v31, v2
	v_and_b32_sdwa v2, v31, s58 dst_sel:DWORD dst_unused:UNUSED_PAD src0_sel:BYTE_3 src1_sel:DWORD
	v_and_b32_e32 v34, 0x7f800000, v31
	v_and_b32_e32 v10, 0x7fffff, v31
	v_or_b32_e32 v32, 0x7e, v2
	v_cmp_ne_u64_e32 vcc, s[62:63], v[34:35]
	s_and_saveexec_b64 s[2:3], vcc
	s_xor_b64 s[10:11], exec, s[2:3]
	s_cbranch_execz .LBB18_218
; %bb.205:                              ;   in Loop: Header=BB18_188 Depth=2
	v_and_b32_e32 v34, 0x7fffffff, v31
	v_mov_b32_e32 v35, v11
	v_cmp_gt_u64_e32 vcc, s[64:65], v[34:35]
	s_and_saveexec_b64 s[2:3], vcc
	s_xor_b64 s[12:13], exec, s[2:3]
	s_cbranch_execz .LBB18_217
; %bb.206:                              ;   in Loop: Header=BB18_188 Depth=2
	v_cmp_ne_u32_e32 vcc, 0, v31
	v_pk_mov_b32 v[32:33], 0, 0
	s_and_saveexec_b64 s[14:15], vcc
	s_cbranch_execz .LBB18_216
; %bb.207:                              ;   in Loop: Header=BB18_188 Depth=2
	v_bfe_u32 v31, v31, 23, 8
	v_sub_u32_e32 v33, 0x79, v31
	v_cmp_gt_u32_e32 vcc, s59, v31
	v_cndmask_b32_e32 v33, 0, v33, vcc
	v_cmp_eq_u32_e32 vcc, 0, v31
	v_add_u32_e32 v32, 0xffffff81, v31
	v_cndmask_b32_e32 v35, v33, v89, vcc
	v_or_b32_e32 v34, 0x800000, v10
	v_cndmask_b32_e32 v31, v32, v88, vcc
	v_add_u32_e32 v32, 20, v35
	v_cndmask_b32_e32 v10, v34, v10, vcc
	v_lshlrev_b64 v[32:33], v32, -1
	v_not_b32_e32 v32, v32
	v_lshrrev_b64 v[38:39], v35, v[10:11]
	v_not_b32_e32 v33, v33
	v_and_b32_e32 v32, v10, v32
	v_add_u32_e32 v34, 19, v35
	v_lshrrev_b32_e32 v10, 23, v38
	v_and_b32_e32 v33, 0, v33
	v_lshlrev_b64 v[36:37], v34, 1
	v_add3_u32 v34, v35, v31, v10
	v_bfe_u32 v10, v38, 20, 1
	v_add_u32_e32 v10, -1, v10
	v_cmp_eq_u64_e32 vcc, v[32:33], v[36:37]
	v_cndmask_b32_e32 v10, 0, v10, vcc
	v_add_u32_e32 v10, v10, v38
	v_and_b32_e32 v10, 0xfffff, v10
	v_add_co_u32_e32 v32, vcc, v10, v38
	v_add_u32_e32 v31, 6, v34
	v_addc_co_u32_e32 v33, vcc, 0, v39, vcc
	v_cmp_ne_u32_e32 vcc, 0, v31
                                        ; implicit-def: $vgpr10
	s_and_saveexec_b64 s[2:3], vcc
	s_xor_b64 s[2:3], exec, s[2:3]
; %bb.208:                              ;   in Loop: Header=BB18_188 Depth=2
	v_add_u32_e32 v10, 7, v34
	v_cmp_lt_u64_e32 vcc, s[66:67], v[32:33]
	v_cndmask_b32_e32 v10, v31, v10, vcc
	v_cndmask_b32_e64 v31, 0, 1, vcc
	v_lshrrev_b64 v[32:33], v31, v[32:33]
; %bb.209:                              ;   in Loop: Header=BB18_188 Depth=2
	s_andn2_saveexec_b64 s[2:3], s[2:3]
; %bb.210:                              ;   in Loop: Header=BB18_188 Depth=2
	v_bfe_u32 v10, v32, 23, 1
; %bb.211:                              ;   in Loop: Header=BB18_188 Depth=2
	s_or_b64 exec, exec, s[2:3]
	v_lshrrev_b64 v[32:33], 20, v[32:33]
	v_cmp_gt_i32_e32 vcc, 16, v10
	v_cndmask_b32_e32 v35, 0, v33, vcc
	v_cndmask_b32_e32 v34, 7, v32, vcc
	v_cmp_ne_u32_e32 vcc, 0, v10
	v_cmp_ne_u64_e64 s[2:3], 0, v[34:35]
	s_or_b64 s[2:3], vcc, s[2:3]
                                        ; implicit-def: $vgpr32_vgpr33
	s_and_saveexec_b64 s[16:17], s[2:3]
	s_xor_b64 s[2:3], exec, s[16:17]
; %bb.212:                              ;   in Loop: Header=BB18_188 Depth=2
	v_min_i32_e32 v10, 15, v10
	v_lshl_or_b32 v2, v10, 3, v2
	v_and_or_b32 v32, v34, 7, v2
                                        ; implicit-def: $vgpr2
; %bb.213:                              ;   in Loop: Header=BB18_188 Depth=2
	s_andn2_saveexec_b64 s[2:3], s[2:3]
; %bb.214:                              ;   in Loop: Header=BB18_188 Depth=2
	v_pk_mov_b32 v[32:33], v[2:3], v[2:3] op_sel:[0,1]
; %bb.215:                              ;   in Loop: Header=BB18_188 Depth=2
	s_or_b64 exec, exec, s[2:3]
.LBB18_216:                             ;   in Loop: Header=BB18_188 Depth=2
	s_or_b64 exec, exec, s[14:15]
.LBB18_217:                             ;   in Loop: Header=BB18_188 Depth=2
	s_andn2_saveexec_b64 s[2:3], s[12:13]
	s_or_b64 exec, exec, s[2:3]
                                        ; implicit-def: $vgpr31
.LBB18_218:                             ;   in Loop: Header=BB18_188 Depth=2
	s_andn2_saveexec_b64 s[2:3], s[10:11]
; %bb.219:                              ;   in Loop: Header=BB18_188 Depth=2
	v_or_b32_sdwa v2, v31, s40 dst_sel:DWORD dst_unused:UNUSED_PAD src0_sel:BYTE_3 src1_sel:DWORD
	v_cmp_eq_u64_e32 vcc, 0, v[10:11]
	v_cndmask_b32_e32 v32, v2, v32, vcc
; %bb.220:                              ;   in Loop: Header=BB18_188 Depth=2
	s_or_b64 exec, exec, s[2:3]
	v_cvt_f32_f16_e32 v2, v3
	v_mov_b32_e32 v37, v11
	v_div_scale_f32 v10, s[2:3], s95, s95, v2
	v_rcp_f32_e32 v31, v10
	v_div_scale_f32 v33, vcc, v2, s95, v2
	v_fma_f32 v34, -v10, v31, 1.0
	v_fmac_f32_e32 v31, v34, v31
	v_mul_f32_e32 v34, v33, v31
	v_fma_f32 v35, -v10, v34, v33
	v_fmac_f32_e32 v34, v35, v31
	v_fma_f32 v10, -v10, v34, v33
	v_div_fmas_f32 v10, v10, v31, v34
	v_div_fixup_f32 v2, v10, s95, v2
	v_cvt_f16_f32_e32 v2, v2
	v_cvt_f32_f16_e32 v31, v2
	v_and_b32_sdwa v2, v31, s58 dst_sel:DWORD dst_unused:UNUSED_PAD src0_sel:BYTE_3 src1_sel:DWORD
	v_and_b32_e32 v36, 0x7f800000, v31
	v_and_b32_e32 v10, 0x7fffff, v31
	v_or_b32_e32 v34, 0x7e, v2
	v_cmp_ne_u64_e32 vcc, s[62:63], v[36:37]
	s_and_saveexec_b64 s[2:3], vcc
	s_xor_b64 s[10:11], exec, s[2:3]
	s_cbranch_execz .LBB18_234
; %bb.221:                              ;   in Loop: Header=BB18_188 Depth=2
	v_and_b32_e32 v36, 0x7fffffff, v31
	v_mov_b32_e32 v37, v11
	v_cmp_gt_u64_e32 vcc, s[64:65], v[36:37]
	s_and_saveexec_b64 s[2:3], vcc
	s_xor_b64 s[12:13], exec, s[2:3]
	s_cbranch_execz .LBB18_233
; %bb.222:                              ;   in Loop: Header=BB18_188 Depth=2
	v_cmp_ne_u32_e32 vcc, 0, v31
	v_pk_mov_b32 v[34:35], 0, 0
	s_and_saveexec_b64 s[14:15], vcc
	s_cbranch_execz .LBB18_232
; %bb.223:                              ;   in Loop: Header=BB18_188 Depth=2
	v_bfe_u32 v31, v31, 23, 8
	v_sub_u32_e32 v34, 0x79, v31
	v_cmp_gt_u32_e32 vcc, s59, v31
	v_add_u32_e32 v33, 0xffffff81, v31
	v_cndmask_b32_e32 v34, 0, v34, vcc
	v_cmp_eq_u32_e32 vcc, 0, v31
	v_cndmask_b32_e32 v31, v33, v88, vcc
	v_cndmask_b32_e32 v33, v34, v89, vcc
	v_or_b32_e32 v35, 0x800000, v10
	v_add_u32_e32 v34, 20, v33
	v_cndmask_b32_e32 v10, v35, v10, vcc
	v_lshlrev_b64 v[34:35], v34, -1
	v_not_b32_e32 v34, v34
	v_lshrrev_b64 v[38:39], v33, v[10:11]
	v_not_b32_e32 v35, v35
	v_and_b32_e32 v34, v10, v34
	v_add_u32_e32 v36, 19, v33
	v_lshrrev_b32_e32 v10, 23, v38
	v_and_b32_e32 v35, 0, v35
	v_lshlrev_b64 v[36:37], v36, 1
	v_add3_u32 v33, v33, v31, v10
	v_bfe_u32 v10, v38, 20, 1
	v_add_u32_e32 v10, -1, v10
	v_cmp_eq_u64_e32 vcc, v[34:35], v[36:37]
	v_cndmask_b32_e32 v10, 0, v10, vcc
	v_add_u32_e32 v10, v10, v38
	v_and_b32_e32 v10, 0xfffff, v10
	v_add_co_u32_e32 v34, vcc, v10, v38
	v_add_u32_e32 v31, 6, v33
	v_addc_co_u32_e32 v35, vcc, 0, v39, vcc
	v_cmp_ne_u32_e32 vcc, 0, v31
                                        ; implicit-def: $vgpr10
	s_and_saveexec_b64 s[2:3], vcc
	s_xor_b64 s[2:3], exec, s[2:3]
; %bb.224:                              ;   in Loop: Header=BB18_188 Depth=2
	v_add_u32_e32 v10, 7, v33
	v_cmp_lt_u64_e32 vcc, s[66:67], v[34:35]
	v_cndmask_b32_e32 v10, v31, v10, vcc
	v_cndmask_b32_e64 v31, 0, 1, vcc
	v_lshrrev_b64 v[34:35], v31, v[34:35]
; %bb.225:                              ;   in Loop: Header=BB18_188 Depth=2
	s_andn2_saveexec_b64 s[2:3], s[2:3]
; %bb.226:                              ;   in Loop: Header=BB18_188 Depth=2
	v_bfe_u32 v10, v34, 23, 1
; %bb.227:                              ;   in Loop: Header=BB18_188 Depth=2
	s_or_b64 exec, exec, s[2:3]
	v_lshrrev_b64 v[34:35], 20, v[34:35]
	v_cmp_gt_i32_e32 vcc, 16, v10
	v_cndmask_b32_e32 v37, 0, v35, vcc
	v_cndmask_b32_e32 v36, 7, v34, vcc
	v_cmp_ne_u32_e32 vcc, 0, v10
	v_cmp_ne_u64_e64 s[2:3], 0, v[36:37]
	s_or_b64 s[2:3], vcc, s[2:3]
                                        ; implicit-def: $vgpr34_vgpr35
	s_and_saveexec_b64 s[16:17], s[2:3]
	s_xor_b64 s[2:3], exec, s[16:17]
; %bb.228:                              ;   in Loop: Header=BB18_188 Depth=2
	v_min_i32_e32 v10, 15, v10
	v_lshl_or_b32 v2, v10, 3, v2
	v_and_or_b32 v34, v36, 7, v2
                                        ; implicit-def: $vgpr2
; %bb.229:                              ;   in Loop: Header=BB18_188 Depth=2
	s_andn2_saveexec_b64 s[2:3], s[2:3]
; %bb.230:                              ;   in Loop: Header=BB18_188 Depth=2
	v_pk_mov_b32 v[34:35], v[2:3], v[2:3] op_sel:[0,1]
; %bb.231:                              ;   in Loop: Header=BB18_188 Depth=2
	s_or_b64 exec, exec, s[2:3]
.LBB18_232:                             ;   in Loop: Header=BB18_188 Depth=2
	s_or_b64 exec, exec, s[14:15]
.LBB18_233:                             ;   in Loop: Header=BB18_188 Depth=2
	s_andn2_saveexec_b64 s[2:3], s[12:13]
	s_or_b64 exec, exec, s[2:3]
                                        ; implicit-def: $vgpr31
.LBB18_234:                             ;   in Loop: Header=BB18_188 Depth=2
	s_andn2_saveexec_b64 s[2:3], s[10:11]
; %bb.235:                              ;   in Loop: Header=BB18_188 Depth=2
	v_or_b32_sdwa v2, v31, s40 dst_sel:DWORD dst_unused:UNUSED_PAD src0_sel:BYTE_3 src1_sel:DWORD
	v_cmp_eq_u64_e32 vcc, 0, v[10:11]
	v_cndmask_b32_e32 v34, v2, v34, vcc
; %bb.236:                              ;   in Loop: Header=BB18_188 Depth=2
	s_or_b64 exec, exec, s[2:3]
	v_cvt_f32_f16_sdwa v2, v3 dst_sel:DWORD dst_unused:UNUSED_PAD src0_sel:WORD_1
	v_mov_b32_e32 v39, v11
	v_div_scale_f32 v3, s[2:3], s95, s95, v2
	v_rcp_f32_e32 v10, v3
	v_div_scale_f32 v31, vcc, v2, s95, v2
	v_fma_f32 v33, -v3, v10, 1.0
	v_fmac_f32_e32 v10, v33, v10
	v_mul_f32_e32 v33, v31, v10
	v_fma_f32 v35, -v3, v33, v31
	v_fmac_f32_e32 v33, v35, v10
	v_fma_f32 v3, -v3, v33, v31
	v_div_fmas_f32 v3, v3, v10, v33
	v_div_fixup_f32 v2, v3, s95, v2
	v_cvt_f16_f32_e32 v2, v2
	v_cvt_f32_f16_e32 v31, v2
	v_and_b32_sdwa v36, v31, s58 dst_sel:DWORD dst_unused:UNUSED_PAD src0_sel:BYTE_3 src1_sel:DWORD
	v_and_b32_e32 v38, 0x7f800000, v31
	v_and_b32_e32 v10, 0x7fffff, v31
	v_or_b32_e32 v2, 0x7e, v36
	v_cmp_ne_u64_e32 vcc, s[62:63], v[38:39]
	s_and_saveexec_b64 s[2:3], vcc
	s_xor_b64 s[10:11], exec, s[2:3]
	s_cbranch_execz .LBB18_250
; %bb.237:                              ;   in Loop: Header=BB18_188 Depth=2
	v_and_b32_e32 v38, 0x7fffffff, v31
	v_mov_b32_e32 v39, v11
	v_cmp_gt_u64_e32 vcc, s[64:65], v[38:39]
	s_and_saveexec_b64 s[2:3], vcc
	s_xor_b64 s[12:13], exec, s[2:3]
	s_cbranch_execz .LBB18_249
; %bb.238:                              ;   in Loop: Header=BB18_188 Depth=2
	v_cmp_ne_u32_e32 vcc, 0, v31
	v_pk_mov_b32 v[2:3], 0, 0
	s_and_saveexec_b64 s[14:15], vcc
	s_cbranch_execz .LBB18_248
; %bb.239:                              ;   in Loop: Header=BB18_188 Depth=2
	v_bfe_u32 v2, v31, 23, 8
	v_sub_u32_e32 v31, 0x79, v2
	v_cmp_gt_u32_e32 vcc, s59, v2
	v_cndmask_b32_e32 v31, 0, v31, vcc
	v_cmp_eq_u32_e32 vcc, 0, v2
	v_cndmask_b32_e32 v31, v31, v89, vcc
	v_add_u32_e32 v3, 0xffffff81, v2
	v_or_b32_e32 v33, 0x800000, v10
	v_add_u32_e32 v2, 20, v31
	v_cndmask_b32_e32 v35, v3, v88, vcc
	v_cndmask_b32_e32 v10, v33, v10, vcc
	v_lshlrev_b64 v[2:3], v2, -1
	v_not_b32_e32 v2, v2
	v_lshrrev_b64 v[40:41], v31, v[10:11]
	v_not_b32_e32 v3, v3
	v_and_b32_e32 v2, v10, v2
	v_add_u32_e32 v33, 19, v31
	v_lshrrev_b32_e32 v10, 23, v40
	v_and_b32_e32 v3, 0, v3
	v_lshlrev_b64 v[38:39], v33, 1
	v_add3_u32 v33, v31, v35, v10
	v_bfe_u32 v10, v40, 20, 1
	v_add_u32_e32 v10, -1, v10
	v_cmp_eq_u64_e32 vcc, v[2:3], v[38:39]
	v_cndmask_b32_e32 v2, 0, v10, vcc
	v_add_u32_e32 v2, v2, v40
	v_and_b32_e32 v2, 0xfffff, v2
	v_add_co_u32_e32 v2, vcc, v2, v40
	v_add_u32_e32 v31, 6, v33
	v_addc_co_u32_e32 v3, vcc, 0, v41, vcc
	v_cmp_ne_u32_e32 vcc, 0, v31
                                        ; implicit-def: $vgpr10
	s_and_saveexec_b64 s[2:3], vcc
	s_xor_b64 s[2:3], exec, s[2:3]
; %bb.240:                              ;   in Loop: Header=BB18_188 Depth=2
	v_add_u32_e32 v10, 7, v33
	v_cmp_lt_u64_e32 vcc, s[66:67], v[2:3]
	v_cndmask_b32_e32 v10, v31, v10, vcc
	v_cndmask_b32_e64 v31, 0, 1, vcc
	v_lshrrev_b64 v[2:3], v31, v[2:3]
; %bb.241:                              ;   in Loop: Header=BB18_188 Depth=2
	s_andn2_saveexec_b64 s[2:3], s[2:3]
; %bb.242:                              ;   in Loop: Header=BB18_188 Depth=2
	v_bfe_u32 v10, v2, 23, 1
; %bb.243:                              ;   in Loop: Header=BB18_188 Depth=2
	s_or_b64 exec, exec, s[2:3]
	v_lshrrev_b64 v[2:3], 20, v[2:3]
	v_cmp_gt_i32_e32 vcc, 16, v10
	v_cndmask_b32_e32 v39, 0, v3, vcc
	v_cndmask_b32_e32 v38, 7, v2, vcc
	v_cmp_ne_u32_e32 vcc, 0, v10
	v_cmp_ne_u64_e64 s[2:3], 0, v[38:39]
	s_or_b64 s[2:3], vcc, s[2:3]
                                        ; implicit-def: $vgpr2_vgpr3
	s_and_saveexec_b64 s[16:17], s[2:3]
	s_xor_b64 s[2:3], exec, s[16:17]
; %bb.244:                              ;   in Loop: Header=BB18_188 Depth=2
	v_min_i32_e32 v2, 15, v10
	v_lshl_or_b32 v2, v2, 3, v36
	v_and_or_b32 v2, v38, 7, v2
                                        ; implicit-def: $vgpr36
; %bb.245:                              ;   in Loop: Header=BB18_188 Depth=2
	s_andn2_saveexec_b64 s[2:3], s[2:3]
; %bb.246:                              ;   in Loop: Header=BB18_188 Depth=2
	v_pk_mov_b32 v[2:3], v[36:37], v[36:37] op_sel:[0,1]
; %bb.247:                              ;   in Loop: Header=BB18_188 Depth=2
	s_or_b64 exec, exec, s[2:3]
.LBB18_248:                             ;   in Loop: Header=BB18_188 Depth=2
	s_or_b64 exec, exec, s[14:15]
.LBB18_249:                             ;   in Loop: Header=BB18_188 Depth=2
	s_andn2_saveexec_b64 s[2:3], s[12:13]
	s_or_b64 exec, exec, s[2:3]
                                        ; implicit-def: $vgpr31
.LBB18_250:                             ;   in Loop: Header=BB18_188 Depth=2
	s_andn2_saveexec_b64 s[2:3], s[10:11]
; %bb.251:                              ;   in Loop: Header=BB18_188 Depth=2
	v_or_b32_sdwa v3, v31, s40 dst_sel:DWORD dst_unused:UNUSED_PAD src0_sel:BYTE_3 src1_sel:DWORD
	v_cmp_eq_u64_e32 vcc, 0, v[10:11]
	v_cndmask_b32_e32 v2, v3, v2, vcc
; %bb.252:                              ;   in Loop: Header=BB18_188 Depth=2
	s_or_b64 exec, exec, s[2:3]
	v_cvt_f32_f16_e32 v3, v4
	v_mov_b32_e32 v41, v11
	v_div_scale_f32 v10, s[2:3], s95, s95, v3
	v_rcp_f32_e32 v31, v10
	v_div_scale_f32 v33, vcc, v3, s95, v3
	v_fma_f32 v35, -v10, v31, 1.0
	v_fmac_f32_e32 v31, v35, v31
	v_mul_f32_e32 v35, v33, v31
	v_fma_f32 v36, -v10, v35, v33
	v_fmac_f32_e32 v35, v36, v31
	v_fma_f32 v10, -v10, v35, v33
	v_div_fmas_f32 v10, v10, v31, v35
	v_div_fixup_f32 v3, v10, s95, v3
	v_cvt_f16_f32_e32 v3, v3
	v_cvt_f32_f16_e32 v3, v3
	v_and_b32_sdwa v38, v3, s58 dst_sel:DWORD dst_unused:UNUSED_PAD src0_sel:BYTE_3 src1_sel:DWORD
	v_and_b32_e32 v40, 0x7f800000, v3
	v_and_b32_e32 v10, 0x7fffff, v3
	v_or_b32_e32 v36, 0x7e, v38
	v_cmp_ne_u64_e32 vcc, s[62:63], v[40:41]
	s_and_saveexec_b64 s[2:3], vcc
	s_xor_b64 s[10:11], exec, s[2:3]
	s_cbranch_execz .LBB18_266
; %bb.253:                              ;   in Loop: Header=BB18_188 Depth=2
	v_and_b32_e32 v40, 0x7fffffff, v3
	v_mov_b32_e32 v41, v11
	v_cmp_gt_u64_e32 vcc, s[64:65], v[40:41]
	s_and_saveexec_b64 s[2:3], vcc
	s_xor_b64 s[12:13], exec, s[2:3]
	s_cbranch_execz .LBB18_265
; %bb.254:                              ;   in Loop: Header=BB18_188 Depth=2
	v_cmp_ne_u32_e32 vcc, 0, v3
	v_pk_mov_b32 v[36:37], 0, 0
	s_and_saveexec_b64 s[14:15], vcc
	s_cbranch_execz .LBB18_264
; %bb.255:                              ;   in Loop: Header=BB18_188 Depth=2
	v_bfe_u32 v3, v3, 23, 8
	v_sub_u32_e32 v33, 0x79, v3
	v_cmp_gt_u32_e32 vcc, s59, v3
	v_add_u32_e32 v31, 0xffffff81, v3
	v_cndmask_b32_e32 v33, 0, v33, vcc
	v_cmp_eq_u32_e32 vcc, 0, v3
	v_cndmask_b32_e32 v3, v31, v88, vcc
	v_cndmask_b32_e32 v31, v33, v89, vcc
	v_or_b32_e32 v35, 0x800000, v10
	v_add_u32_e32 v33, 20, v31
	v_cndmask_b32_e32 v10, v35, v10, vcc
	v_lshlrev_b64 v[36:37], v33, -1
	v_not_b32_e32 v33, v37
	v_not_b32_e32 v35, v36
	v_lshrrev_b64 v[42:43], v31, v[10:11]
	v_and_b32_e32 v37, 0, v33
	v_and_b32_e32 v36, v10, v35
	v_add_u32_e32 v33, 19, v31
	v_lshrrev_b32_e32 v10, 23, v42
	v_lshlrev_b64 v[40:41], v33, 1
	v_add3_u32 v31, v31, v3, v10
	v_bfe_u32 v3, v42, 20, 1
	v_add_u32_e32 v3, -1, v3
	v_cmp_eq_u64_e32 vcc, v[36:37], v[40:41]
	v_cndmask_b32_e32 v3, 0, v3, vcc
	v_add_u32_e32 v3, v3, v42
	v_and_b32_e32 v3, 0xfffff, v3
	v_add_co_u32_e32 v36, vcc, v3, v42
	v_add_u32_e32 v10, 6, v31
	v_addc_co_u32_e32 v37, vcc, 0, v43, vcc
	v_cmp_ne_u32_e32 vcc, 0, v10
                                        ; implicit-def: $vgpr3
	s_and_saveexec_b64 s[2:3], vcc
	s_xor_b64 s[2:3], exec, s[2:3]
; %bb.256:                              ;   in Loop: Header=BB18_188 Depth=2
	v_add_u32_e32 v3, 7, v31
	v_cmp_lt_u64_e32 vcc, s[66:67], v[36:37]
	v_cndmask_b32_e32 v3, v10, v3, vcc
	v_cndmask_b32_e64 v10, 0, 1, vcc
	v_lshrrev_b64 v[36:37], v10, v[36:37]
; %bb.257:                              ;   in Loop: Header=BB18_188 Depth=2
	s_andn2_saveexec_b64 s[2:3], s[2:3]
; %bb.258:                              ;   in Loop: Header=BB18_188 Depth=2
	v_bfe_u32 v3, v36, 23, 1
; %bb.259:                              ;   in Loop: Header=BB18_188 Depth=2
	s_or_b64 exec, exec, s[2:3]
	v_lshrrev_b64 v[36:37], 20, v[36:37]
	v_cmp_gt_i32_e32 vcc, 16, v3
	v_cndmask_b32_e32 v41, 0, v37, vcc
	v_cndmask_b32_e32 v40, 7, v36, vcc
	v_cmp_ne_u32_e32 vcc, 0, v3
	v_cmp_ne_u64_e64 s[2:3], 0, v[40:41]
	s_or_b64 s[2:3], vcc, s[2:3]
                                        ; implicit-def: $vgpr36_vgpr37
	s_and_saveexec_b64 s[16:17], s[2:3]
	s_xor_b64 s[2:3], exec, s[16:17]
; %bb.260:                              ;   in Loop: Header=BB18_188 Depth=2
	v_min_i32_e32 v3, 15, v3
	v_lshl_or_b32 v3, v3, 3, v38
	v_and_or_b32 v36, v40, 7, v3
                                        ; implicit-def: $vgpr38
; %bb.261:                              ;   in Loop: Header=BB18_188 Depth=2
	s_andn2_saveexec_b64 s[2:3], s[2:3]
; %bb.262:                              ;   in Loop: Header=BB18_188 Depth=2
	v_pk_mov_b32 v[36:37], v[38:39], v[38:39] op_sel:[0,1]
; %bb.263:                              ;   in Loop: Header=BB18_188 Depth=2
	s_or_b64 exec, exec, s[2:3]
.LBB18_264:                             ;   in Loop: Header=BB18_188 Depth=2
	s_or_b64 exec, exec, s[14:15]
.LBB18_265:                             ;   in Loop: Header=BB18_188 Depth=2
	s_andn2_saveexec_b64 s[2:3], s[12:13]
	s_or_b64 exec, exec, s[2:3]
                                        ; implicit-def: $vgpr3
.LBB18_266:                             ;   in Loop: Header=BB18_188 Depth=2
	s_andn2_saveexec_b64 s[2:3], s[10:11]
; %bb.267:                              ;   in Loop: Header=BB18_188 Depth=2
	v_or_b32_sdwa v3, v3, s40 dst_sel:DWORD dst_unused:UNUSED_PAD src0_sel:BYTE_3 src1_sel:DWORD
	v_cmp_eq_u64_e32 vcc, 0, v[10:11]
	v_cndmask_b32_e32 v36, v3, v36, vcc
; %bb.268:                              ;   in Loop: Header=BB18_188 Depth=2
	s_or_b64 exec, exec, s[2:3]
	v_cvt_f32_f16_sdwa v3, v4 dst_sel:DWORD dst_unused:UNUSED_PAD src0_sel:WORD_1
	v_mov_b32_e32 v41, v11
	v_div_scale_f32 v4, s[2:3], s95, s95, v3
	v_rcp_f32_e32 v10, v4
	v_div_scale_f32 v31, vcc, v3, s95, v3
	v_fma_f32 v33, -v4, v10, 1.0
	v_fmac_f32_e32 v10, v33, v10
	v_mul_f32_e32 v33, v31, v10
	v_fma_f32 v35, -v4, v33, v31
	v_fmac_f32_e32 v33, v35, v10
	v_fma_f32 v4, -v4, v33, v31
	v_div_fmas_f32 v4, v4, v10, v33
	v_div_fixup_f32 v3, v4, s95, v3
	v_cvt_f16_f32_e32 v3, v3
	v_cvt_f32_f16_e32 v3, v3
	v_and_b32_sdwa v4, v3, s58 dst_sel:DWORD dst_unused:UNUSED_PAD src0_sel:BYTE_3 src1_sel:DWORD
	v_and_b32_e32 v40, 0x7f800000, v3
	v_and_b32_e32 v10, 0x7fffff, v3
	v_or_b32_e32 v38, 0x7e, v4
	v_cmp_ne_u64_e32 vcc, s[62:63], v[40:41]
	s_and_saveexec_b64 s[2:3], vcc
	s_xor_b64 s[10:11], exec, s[2:3]
	s_cbranch_execz .LBB18_282
; %bb.269:                              ;   in Loop: Header=BB18_188 Depth=2
	v_and_b32_e32 v40, 0x7fffffff, v3
	v_mov_b32_e32 v41, v11
	v_cmp_gt_u64_e32 vcc, s[64:65], v[40:41]
	s_and_saveexec_b64 s[2:3], vcc
	s_xor_b64 s[12:13], exec, s[2:3]
	s_cbranch_execz .LBB18_281
; %bb.270:                              ;   in Loop: Header=BB18_188 Depth=2
	v_cmp_ne_u32_e32 vcc, 0, v3
	v_pk_mov_b32 v[38:39], 0, 0
	s_and_saveexec_b64 s[14:15], vcc
	s_cbranch_execz .LBB18_280
; %bb.271:                              ;   in Loop: Header=BB18_188 Depth=2
	v_bfe_u32 v3, v3, 23, 8
	v_sub_u32_e32 v33, 0x79, v3
	v_cmp_gt_u32_e32 vcc, s59, v3
	v_add_u32_e32 v31, 0xffffff81, v3
	v_cndmask_b32_e32 v33, 0, v33, vcc
	v_cmp_eq_u32_e32 vcc, 0, v3
	v_cndmask_b32_e32 v3, v31, v88, vcc
	v_cndmask_b32_e32 v31, v33, v89, vcc
	v_or_b32_e32 v35, 0x800000, v10
	v_add_u32_e32 v33, 20, v31
	v_cndmask_b32_e32 v10, v35, v10, vcc
	v_lshlrev_b64 v[38:39], v33, -1
	v_not_b32_e32 v33, v39
	v_not_b32_e32 v35, v38
	v_lshrrev_b64 v[42:43], v31, v[10:11]
	v_and_b32_e32 v39, 0, v33
	v_and_b32_e32 v38, v10, v35
	v_add_u32_e32 v33, 19, v31
	v_lshrrev_b32_e32 v10, 23, v42
	v_lshlrev_b64 v[40:41], v33, 1
	v_add3_u32 v31, v31, v3, v10
	v_bfe_u32 v3, v42, 20, 1
	v_add_u32_e32 v3, -1, v3
	v_cmp_eq_u64_e32 vcc, v[38:39], v[40:41]
	v_cndmask_b32_e32 v3, 0, v3, vcc
	v_add_u32_e32 v3, v3, v42
	v_and_b32_e32 v3, 0xfffff, v3
	v_add_co_u32_e32 v38, vcc, v3, v42
	v_add_u32_e32 v10, 6, v31
	v_addc_co_u32_e32 v39, vcc, 0, v43, vcc
	v_cmp_ne_u32_e32 vcc, 0, v10
                                        ; implicit-def: $vgpr3
	s_and_saveexec_b64 s[2:3], vcc
	s_xor_b64 s[2:3], exec, s[2:3]
; %bb.272:                              ;   in Loop: Header=BB18_188 Depth=2
	v_add_u32_e32 v3, 7, v31
	v_cmp_lt_u64_e32 vcc, s[66:67], v[38:39]
	v_cndmask_b32_e32 v3, v10, v3, vcc
	v_cndmask_b32_e64 v10, 0, 1, vcc
	v_lshrrev_b64 v[38:39], v10, v[38:39]
; %bb.273:                              ;   in Loop: Header=BB18_188 Depth=2
	s_andn2_saveexec_b64 s[2:3], s[2:3]
; %bb.274:                              ;   in Loop: Header=BB18_188 Depth=2
	v_bfe_u32 v3, v38, 23, 1
; %bb.275:                              ;   in Loop: Header=BB18_188 Depth=2
	s_or_b64 exec, exec, s[2:3]
	v_lshrrev_b64 v[38:39], 20, v[38:39]
	v_cmp_gt_i32_e32 vcc, 16, v3
	v_cndmask_b32_e32 v41, 0, v39, vcc
	v_cndmask_b32_e32 v40, 7, v38, vcc
	v_cmp_ne_u32_e32 vcc, 0, v3
	v_cmp_ne_u64_e64 s[2:3], 0, v[40:41]
	s_or_b64 s[2:3], vcc, s[2:3]
                                        ; implicit-def: $vgpr38_vgpr39
	s_and_saveexec_b64 s[16:17], s[2:3]
	s_xor_b64 s[2:3], exec, s[16:17]
; %bb.276:                              ;   in Loop: Header=BB18_188 Depth=2
	v_min_i32_e32 v3, 15, v3
	v_lshl_or_b32 v3, v3, 3, v4
	v_and_or_b32 v38, v40, 7, v3
                                        ; implicit-def: $vgpr4
; %bb.277:                              ;   in Loop: Header=BB18_188 Depth=2
	s_andn2_saveexec_b64 s[2:3], s[2:3]
; %bb.278:                              ;   in Loop: Header=BB18_188 Depth=2
	v_pk_mov_b32 v[38:39], v[4:5], v[4:5] op_sel:[0,1]
; %bb.279:                              ;   in Loop: Header=BB18_188 Depth=2
	s_or_b64 exec, exec, s[2:3]
.LBB18_280:                             ;   in Loop: Header=BB18_188 Depth=2
	s_or_b64 exec, exec, s[14:15]
.LBB18_281:                             ;   in Loop: Header=BB18_188 Depth=2
	s_andn2_saveexec_b64 s[2:3], s[12:13]
	s_or_b64 exec, exec, s[2:3]
                                        ; implicit-def: $vgpr3
.LBB18_282:                             ;   in Loop: Header=BB18_188 Depth=2
	s_andn2_saveexec_b64 s[2:3], s[10:11]
; %bb.283:                              ;   in Loop: Header=BB18_188 Depth=2
	v_or_b32_sdwa v3, v3, s40 dst_sel:DWORD dst_unused:UNUSED_PAD src0_sel:BYTE_3 src1_sel:DWORD
	v_cmp_eq_u64_e32 vcc, 0, v[10:11]
	v_cndmask_b32_e32 v38, v3, v38, vcc
; %bb.284:                              ;   in Loop: Header=BB18_188 Depth=2
	s_or_b64 exec, exec, s[2:3]
	v_cvt_f32_f16_e32 v3, v5
	v_mov_b32_e32 v43, v11
	v_div_scale_f32 v4, s[2:3], s95, s95, v3
	v_rcp_f32_e32 v10, v4
	v_div_scale_f32 v31, vcc, v3, s95, v3
	v_fma_f32 v33, -v4, v10, 1.0
	v_fmac_f32_e32 v10, v33, v10
	v_mul_f32_e32 v33, v31, v10
	v_fma_f32 v35, -v4, v33, v31
	v_fmac_f32_e32 v33, v35, v10
	v_fma_f32 v4, -v4, v33, v31
	v_div_fmas_f32 v4, v4, v10, v33
	v_div_fixup_f32 v3, v4, s95, v3
	v_cvt_f16_f32_e32 v3, v3
	v_cvt_f32_f16_e32 v3, v3
	v_and_b32_sdwa v4, v3, s58 dst_sel:DWORD dst_unused:UNUSED_PAD src0_sel:BYTE_3 src1_sel:DWORD
	v_and_b32_e32 v42, 0x7f800000, v3
	v_and_b32_e32 v10, 0x7fffff, v3
	v_or_b32_e32 v40, 0x7e, v4
	v_cmp_ne_u64_e32 vcc, s[62:63], v[42:43]
	s_and_saveexec_b64 s[2:3], vcc
	s_xor_b64 s[10:11], exec, s[2:3]
	s_cbranch_execz .LBB18_298
; %bb.285:                              ;   in Loop: Header=BB18_188 Depth=2
	v_and_b32_e32 v42, 0x7fffffff, v3
	v_mov_b32_e32 v43, v11
	v_cmp_gt_u64_e32 vcc, s[64:65], v[42:43]
	s_and_saveexec_b64 s[2:3], vcc
	s_xor_b64 s[12:13], exec, s[2:3]
	s_cbranch_execz .LBB18_297
; %bb.286:                              ;   in Loop: Header=BB18_188 Depth=2
	v_cmp_ne_u32_e32 vcc, 0, v3
	v_pk_mov_b32 v[40:41], 0, 0
	s_and_saveexec_b64 s[14:15], vcc
	s_cbranch_execz .LBB18_296
; %bb.287:                              ;   in Loop: Header=BB18_188 Depth=2
	v_bfe_u32 v3, v3, 23, 8
	v_sub_u32_e32 v33, 0x79, v3
	v_cmp_gt_u32_e32 vcc, s59, v3
	v_add_u32_e32 v31, 0xffffff81, v3
	v_cndmask_b32_e32 v33, 0, v33, vcc
	v_cmp_eq_u32_e32 vcc, 0, v3
	v_cndmask_b32_e32 v3, v31, v88, vcc
	v_cndmask_b32_e32 v31, v33, v89, vcc
	v_or_b32_e32 v35, 0x800000, v10
	v_add_u32_e32 v33, 20, v31
	v_cndmask_b32_e32 v10, v35, v10, vcc
	v_lshlrev_b64 v[40:41], v33, -1
	v_not_b32_e32 v33, v41
	v_not_b32_e32 v35, v40
	v_lshrrev_b64 v[44:45], v31, v[10:11]
	v_and_b32_e32 v41, 0, v33
	v_and_b32_e32 v40, v10, v35
	v_add_u32_e32 v33, 19, v31
	v_lshrrev_b32_e32 v10, 23, v44
	v_lshlrev_b64 v[42:43], v33, 1
	v_add3_u32 v31, v31, v3, v10
	v_bfe_u32 v3, v44, 20, 1
	v_add_u32_e32 v3, -1, v3
	v_cmp_eq_u64_e32 vcc, v[40:41], v[42:43]
	v_cndmask_b32_e32 v3, 0, v3, vcc
	v_add_u32_e32 v3, v3, v44
	v_and_b32_e32 v3, 0xfffff, v3
	v_add_co_u32_e32 v40, vcc, v3, v44
	v_add_u32_e32 v10, 6, v31
	v_addc_co_u32_e32 v41, vcc, 0, v45, vcc
	v_cmp_ne_u32_e32 vcc, 0, v10
                                        ; implicit-def: $vgpr3
	s_and_saveexec_b64 s[2:3], vcc
	s_xor_b64 s[2:3], exec, s[2:3]
; %bb.288:                              ;   in Loop: Header=BB18_188 Depth=2
	v_add_u32_e32 v3, 7, v31
	v_cmp_lt_u64_e32 vcc, s[66:67], v[40:41]
	v_cndmask_b32_e32 v3, v10, v3, vcc
	v_cndmask_b32_e64 v10, 0, 1, vcc
	v_lshrrev_b64 v[40:41], v10, v[40:41]
; %bb.289:                              ;   in Loop: Header=BB18_188 Depth=2
	s_andn2_saveexec_b64 s[2:3], s[2:3]
; %bb.290:                              ;   in Loop: Header=BB18_188 Depth=2
	v_bfe_u32 v3, v40, 23, 1
; %bb.291:                              ;   in Loop: Header=BB18_188 Depth=2
	s_or_b64 exec, exec, s[2:3]
	v_lshrrev_b64 v[40:41], 20, v[40:41]
	v_cmp_gt_i32_e32 vcc, 16, v3
	v_cndmask_b32_e32 v43, 0, v41, vcc
	v_cndmask_b32_e32 v42, 7, v40, vcc
	v_cmp_ne_u32_e32 vcc, 0, v3
	v_cmp_ne_u64_e64 s[2:3], 0, v[42:43]
	s_or_b64 s[2:3], vcc, s[2:3]
                                        ; implicit-def: $vgpr40_vgpr41
	s_and_saveexec_b64 s[16:17], s[2:3]
	s_xor_b64 s[2:3], exec, s[16:17]
; %bb.292:                              ;   in Loop: Header=BB18_188 Depth=2
	v_min_i32_e32 v3, 15, v3
	v_lshl_or_b32 v3, v3, 3, v4
	v_and_or_b32 v40, v42, 7, v3
                                        ; implicit-def: $vgpr4
; %bb.293:                              ;   in Loop: Header=BB18_188 Depth=2
	s_andn2_saveexec_b64 s[2:3], s[2:3]
; %bb.294:                              ;   in Loop: Header=BB18_188 Depth=2
	v_pk_mov_b32 v[40:41], v[4:5], v[4:5] op_sel:[0,1]
; %bb.295:                              ;   in Loop: Header=BB18_188 Depth=2
	s_or_b64 exec, exec, s[2:3]
.LBB18_296:                             ;   in Loop: Header=BB18_188 Depth=2
	s_or_b64 exec, exec, s[14:15]
.LBB18_297:                             ;   in Loop: Header=BB18_188 Depth=2
	s_andn2_saveexec_b64 s[2:3], s[12:13]
	s_or_b64 exec, exec, s[2:3]
                                        ; implicit-def: $vgpr3
.LBB18_298:                             ;   in Loop: Header=BB18_188 Depth=2
	s_andn2_saveexec_b64 s[2:3], s[10:11]
; %bb.299:                              ;   in Loop: Header=BB18_188 Depth=2
	v_or_b32_sdwa v3, v3, s40 dst_sel:DWORD dst_unused:UNUSED_PAD src0_sel:BYTE_3 src1_sel:DWORD
	v_cmp_eq_u64_e32 vcc, 0, v[10:11]
	v_cndmask_b32_e32 v40, v3, v40, vcc
; %bb.300:                              ;   in Loop: Header=BB18_188 Depth=2
	s_or_b64 exec, exec, s[2:3]
	v_cvt_f32_f16_sdwa v3, v5 dst_sel:DWORD dst_unused:UNUSED_PAD src0_sel:WORD_1
	v_mov_b32_e32 v45, v11
	v_div_scale_f32 v4, s[2:3], s95, s95, v3
	v_rcp_f32_e32 v5, v4
	v_div_scale_f32 v10, vcc, v3, s95, v3
	v_fma_f32 v31, -v4, v5, 1.0
	v_fmac_f32_e32 v5, v31, v5
	v_mul_f32_e32 v31, v10, v5
	v_fma_f32 v33, -v4, v31, v10
	v_fmac_f32_e32 v31, v33, v5
	v_fma_f32 v4, -v4, v31, v10
	v_div_fmas_f32 v4, v4, v5, v31
	v_div_fixup_f32 v3, v4, s95, v3
	v_cvt_f16_f32_e32 v3, v3
	v_cvt_f32_f16_e32 v3, v3
	v_and_b32_sdwa v4, v3, s58 dst_sel:DWORD dst_unused:UNUSED_PAD src0_sel:BYTE_3 src1_sel:DWORD
	v_and_b32_e32 v44, 0x7f800000, v3
	v_and_b32_e32 v10, 0x7fffff, v3
	v_or_b32_e32 v42, 0x7e, v4
	v_cmp_ne_u64_e32 vcc, s[62:63], v[44:45]
	s_and_saveexec_b64 s[2:3], vcc
	s_xor_b64 s[10:11], exec, s[2:3]
	s_cbranch_execz .LBB18_314
; %bb.301:                              ;   in Loop: Header=BB18_188 Depth=2
	v_and_b32_e32 v44, 0x7fffffff, v3
	v_mov_b32_e32 v45, v11
	v_cmp_gt_u64_e32 vcc, s[64:65], v[44:45]
	s_and_saveexec_b64 s[2:3], vcc
	s_xor_b64 s[12:13], exec, s[2:3]
	s_cbranch_execz .LBB18_313
; %bb.302:                              ;   in Loop: Header=BB18_188 Depth=2
	v_cmp_ne_u32_e32 vcc, 0, v3
	v_pk_mov_b32 v[42:43], 0, 0
	s_and_saveexec_b64 s[14:15], vcc
	s_cbranch_execz .LBB18_312
; %bb.303:                              ;   in Loop: Header=BB18_188 Depth=2
	v_bfe_u32 v3, v3, 23, 8
	v_sub_u32_e32 v31, 0x79, v3
	v_cmp_gt_u32_e32 vcc, s59, v3
	v_add_u32_e32 v5, 0xffffff81, v3
	v_cndmask_b32_e32 v31, 0, v31, vcc
	v_cmp_eq_u32_e32 vcc, 0, v3
	v_cndmask_b32_e32 v3, v5, v88, vcc
	v_cndmask_b32_e32 v5, v31, v89, vcc
	v_or_b32_e32 v33, 0x800000, v10
	v_add_u32_e32 v31, 20, v5
	v_cndmask_b32_e32 v10, v33, v10, vcc
	v_lshlrev_b64 v[42:43], v31, -1
	v_not_b32_e32 v31, v43
	v_not_b32_e32 v33, v42
	v_lshrrev_b64 v[46:47], v5, v[10:11]
	v_and_b32_e32 v43, 0, v31
	v_and_b32_e32 v42, v10, v33
	v_add_u32_e32 v31, 19, v5
	v_lshrrev_b32_e32 v10, 23, v46
	v_lshlrev_b64 v[44:45], v31, 1
	v_add3_u32 v10, v5, v3, v10
	v_bfe_u32 v3, v46, 20, 1
	v_add_u32_e32 v3, -1, v3
	v_cmp_eq_u64_e32 vcc, v[42:43], v[44:45]
	v_cndmask_b32_e32 v3, 0, v3, vcc
	v_add_u32_e32 v3, v3, v46
	v_and_b32_e32 v3, 0xfffff, v3
	v_add_co_u32_e32 v42, vcc, v3, v46
	v_add_u32_e32 v5, 6, v10
	v_addc_co_u32_e32 v43, vcc, 0, v47, vcc
	v_cmp_ne_u32_e32 vcc, 0, v5
                                        ; implicit-def: $vgpr3
	s_and_saveexec_b64 s[2:3], vcc
	s_xor_b64 s[2:3], exec, s[2:3]
; %bb.304:                              ;   in Loop: Header=BB18_188 Depth=2
	v_add_u32_e32 v3, 7, v10
	v_cmp_lt_u64_e32 vcc, s[66:67], v[42:43]
	v_cndmask_b32_e32 v3, v5, v3, vcc
	v_cndmask_b32_e64 v5, 0, 1, vcc
	v_lshrrev_b64 v[42:43], v5, v[42:43]
; %bb.305:                              ;   in Loop: Header=BB18_188 Depth=2
	s_andn2_saveexec_b64 s[2:3], s[2:3]
; %bb.306:                              ;   in Loop: Header=BB18_188 Depth=2
	v_bfe_u32 v3, v42, 23, 1
; %bb.307:                              ;   in Loop: Header=BB18_188 Depth=2
	s_or_b64 exec, exec, s[2:3]
	v_lshrrev_b64 v[42:43], 20, v[42:43]
	v_cmp_gt_i32_e32 vcc, 16, v3
	v_cndmask_b32_e32 v45, 0, v43, vcc
	v_cndmask_b32_e32 v44, 7, v42, vcc
	v_cmp_ne_u32_e32 vcc, 0, v3
	v_cmp_ne_u64_e64 s[2:3], 0, v[44:45]
	s_or_b64 s[2:3], vcc, s[2:3]
                                        ; implicit-def: $vgpr42_vgpr43
	s_and_saveexec_b64 s[16:17], s[2:3]
	s_xor_b64 s[2:3], exec, s[16:17]
; %bb.308:                              ;   in Loop: Header=BB18_188 Depth=2
	v_min_i32_e32 v3, 15, v3
	v_lshl_or_b32 v3, v3, 3, v4
	v_and_or_b32 v42, v44, 7, v3
                                        ; implicit-def: $vgpr4
; %bb.309:                              ;   in Loop: Header=BB18_188 Depth=2
	s_andn2_saveexec_b64 s[2:3], s[2:3]
; %bb.310:                              ;   in Loop: Header=BB18_188 Depth=2
	v_pk_mov_b32 v[42:43], v[4:5], v[4:5] op_sel:[0,1]
; %bb.311:                              ;   in Loop: Header=BB18_188 Depth=2
	s_or_b64 exec, exec, s[2:3]
.LBB18_312:                             ;   in Loop: Header=BB18_188 Depth=2
	s_or_b64 exec, exec, s[14:15]
.LBB18_313:                             ;   in Loop: Header=BB18_188 Depth=2
	s_andn2_saveexec_b64 s[2:3], s[12:13]
	s_or_b64 exec, exec, s[2:3]
                                        ; implicit-def: $vgpr3
.LBB18_314:                             ;   in Loop: Header=BB18_188 Depth=2
	s_andn2_saveexec_b64 s[2:3], s[10:11]
	s_cbranch_execz .LBB18_187
; %bb.315:                              ;   in Loop: Header=BB18_188 Depth=2
	v_or_b32_sdwa v3, v3, s40 dst_sel:DWORD dst_unused:UNUSED_PAD src0_sel:BYTE_3 src1_sel:DWORD
	v_cmp_eq_u64_e32 vcc, 0, v[10:11]
	v_cndmask_b32_e32 v42, v3, v42, vcc
	s_branch .LBB18_187
.LBB18_316:                             ;   in Loop: Header=BB18_9 Depth=1
	s_or_b64 exec, exec, s[6:7]
.LBB18_317:                             ;   in Loop: Header=BB18_9 Depth=1
	s_or_b64 exec, exec, s[4:5]
	v_mov_b32_e32 v2, s92
	v_add_co_u32_e32 v46, vcc, s91, v26
	v_addc_co_u32_e32 v47, vcc, v2, v27, vcc
	v_and_b32_e32 v10, 15, v46
	v_cmp_ne_u64_e32 vcc, 0, v[10:11]
	s_or_b64 s[2:3], s[60:61], vcc
	s_and_saveexec_b64 s[4:5], s[2:3]
	s_xor_b64 s[70:71], exec, s[4:5]
	s_cbranch_execz .LBB18_492
; %bb.318:                              ;   in Loop: Header=BB18_9 Depth=1
	v_mov_b32_e32 v2, s94
	v_add_co_u32_e32 v48, vcc, s93, v24
	v_addc_co_u32_e32 v49, vcc, v2, v15, vcc
	v_sub_u32_e32 v2, 0, v46
	v_bfe_u32 v2, v2, 1, 3
	v_min_i32_e32 v24, s57, v2
	v_cmp_gt_i32_e32 vcc, v24, v8
	s_and_saveexec_b64 s[4:5], vcc
	s_cbranch_execz .LBB18_336
; %bb.319:                              ;   in Loop: Header=BB18_9 Depth=1
	v_lshlrev_b32_e32 v2, 1, v8
	v_add_co_u32_e32 v2, vcc, v46, v2
	v_addc_co_u32_e32 v3, vcc, 0, v47, vcc
	global_load_ushort v2, v[2:3], off
	s_waitcnt vmcnt(0)
	v_cvt_f32_f16_e32 v2, v2
	v_div_scale_f32 v3, s[2:3], s33, s33, v2
	v_rcp_f32_e32 v4, v3
	v_div_scale_f32 v5, vcc, v2, s33, v2
	v_fma_f32 v6, -v3, v4, 1.0
	v_fmac_f32_e32 v4, v6, v4
	v_mul_f32_e32 v6, v5, v4
	v_fma_f32 v7, -v3, v6, v5
	v_fmac_f32_e32 v6, v7, v4
	v_fma_f32 v3, -v3, v6, v5
	v_div_fmas_f32 v3, v3, v4, v6
	v_div_fixup_f32 v2, v3, s33, v2
	v_cvt_f16_f32_e32 v2, v2
	v_mov_b32_e32 v7, v11
	v_cvt_f32_f16_e32 v2, v2
	v_and_b32_sdwa v4, v2, s58 dst_sel:DWORD dst_unused:UNUSED_PAD src0_sel:BYTE_3 src1_sel:DWORD
	v_and_b32_e32 v6, 0x7f800000, v2
	v_and_b32_e32 v10, 0x7fffff, v2
	v_or_b32_e32 v3, 0x7e, v4
	v_cmp_ne_u64_e32 vcc, s[62:63], v[6:7]
	s_and_saveexec_b64 s[2:3], vcc
	s_xor_b64 s[6:7], exec, s[2:3]
	s_cbranch_execz .LBB18_333
; %bb.320:                              ;   in Loop: Header=BB18_9 Depth=1
	v_and_b32_e32 v6, 0x7fffffff, v2
	v_mov_b32_e32 v7, v11
	v_cmp_gt_u64_e32 vcc, s[64:65], v[6:7]
	s_and_saveexec_b64 s[2:3], vcc
	s_xor_b64 s[8:9], exec, s[2:3]
	s_cbranch_execz .LBB18_332
; %bb.321:                              ;   in Loop: Header=BB18_9 Depth=1
	v_cmp_ne_u32_e32 vcc, 0, v2
	v_mov_b32_e32 v3, 0
	s_and_saveexec_b64 s[10:11], vcc
	s_cbranch_execz .LBB18_331
; %bb.322:                              ;   in Loop: Header=BB18_9 Depth=1
	v_bfe_u32 v2, v2, 23, 8
	v_sub_u32_e32 v5, 0x79, v2
	v_cmp_gt_u32_e32 vcc, s59, v2
	v_cndmask_b32_e32 v5, 0, v5, vcc
	v_cmp_eq_u32_e32 vcc, 0, v2
	v_or_b32_e32 v6, 0x800000, v10
	v_cndmask_b32_e32 v5, v5, v89, vcc
	v_add_u32_e32 v3, 0xffffff81, v2
	v_cndmask_b32_e32 v10, v6, v10, vcc
	v_add_u32_e32 v2, 20, v5
	v_cndmask_b32_e32 v7, v3, v88, vcc
	v_lshlrev_b64 v[2:3], v2, -1
	v_add_u32_e32 v6, 19, v5
	v_lshrrev_b64 v[28:29], v5, v[10:11]
	v_not_b32_e32 v3, v3
	v_not_b32_e32 v2, v2
	v_lshlrev_b64 v[26:27], v6, 1
	v_lshrrev_b32_e32 v6, 23, v28
	v_and_b32_e32 v3, 0, v3
	v_and_b32_e32 v2, v10, v2
	v_add3_u32 v7, v5, v7, v6
	v_bfe_u32 v5, v28, 20, 1
	v_add_u32_e32 v5, -1, v5
	v_cmp_eq_u64_e32 vcc, v[2:3], v[26:27]
	v_cndmask_b32_e32 v2, 0, v5, vcc
	v_add_u32_e32 v2, v2, v28
	v_and_b32_e32 v2, 0xfffff, v2
	v_add_co_u32_e32 v2, vcc, v2, v28
	v_add_u32_e32 v6, 6, v7
	v_addc_co_u32_e32 v3, vcc, 0, v29, vcc
	v_cmp_ne_u32_e32 vcc, 0, v6
                                        ; implicit-def: $vgpr5
	s_and_saveexec_b64 s[2:3], vcc
	s_xor_b64 s[2:3], exec, s[2:3]
; %bb.323:                              ;   in Loop: Header=BB18_9 Depth=1
	v_add_u32_e32 v5, 7, v7
	v_cmp_lt_u64_e32 vcc, s[66:67], v[2:3]
	v_cndmask_b32_e32 v5, v6, v5, vcc
	v_cndmask_b32_e64 v6, 0, 1, vcc
	v_lshrrev_b64 v[2:3], v6, v[2:3]
; %bb.324:                              ;   in Loop: Header=BB18_9 Depth=1
	s_andn2_saveexec_b64 s[2:3], s[2:3]
; %bb.325:                              ;   in Loop: Header=BB18_9 Depth=1
	v_bfe_u32 v5, v2, 23, 1
; %bb.326:                              ;   in Loop: Header=BB18_9 Depth=1
	s_or_b64 exec, exec, s[2:3]
	v_lshrrev_b64 v[2:3], 20, v[2:3]
	v_cmp_gt_i32_e32 vcc, 16, v5
	v_cndmask_b32_e32 v3, 0, v3, vcc
	v_cndmask_b32_e32 v2, 7, v2, vcc
	v_cmp_ne_u32_e32 vcc, 0, v5
	v_cmp_ne_u64_e64 s[2:3], 0, v[2:3]
	s_or_b64 s[2:3], vcc, s[2:3]
                                        ; implicit-def: $vgpr3
	s_and_saveexec_b64 s[12:13], s[2:3]
	s_xor_b64 s[2:3], exec, s[12:13]
; %bb.327:                              ;   in Loop: Header=BB18_9 Depth=1
	v_min_i32_e32 v3, 15, v5
	v_lshl_or_b32 v3, v3, 3, v4
	v_and_or_b32 v3, v2, 7, v3
                                        ; implicit-def: $vgpr4
; %bb.328:                              ;   in Loop: Header=BB18_9 Depth=1
	s_andn2_saveexec_b64 s[2:3], s[2:3]
; %bb.329:                              ;   in Loop: Header=BB18_9 Depth=1
	v_mov_b32_e32 v3, v4
; %bb.330:                              ;   in Loop: Header=BB18_9 Depth=1
	s_or_b64 exec, exec, s[2:3]
.LBB18_331:                             ;   in Loop: Header=BB18_9 Depth=1
	s_or_b64 exec, exec, s[10:11]
.LBB18_332:                             ;   in Loop: Header=BB18_9 Depth=1
	s_andn2_saveexec_b64 s[2:3], s[8:9]
	s_or_b64 exec, exec, s[2:3]
                                        ; implicit-def: $vgpr2
.LBB18_333:                             ;   in Loop: Header=BB18_9 Depth=1
	s_andn2_saveexec_b64 s[2:3], s[6:7]
; %bb.334:                              ;   in Loop: Header=BB18_9 Depth=1
	v_or_b32_sdwa v2, v2, s40 dst_sel:DWORD dst_unused:UNUSED_PAD src0_sel:BYTE_3 src1_sel:DWORD
	v_cmp_eq_u64_e32 vcc, 0, v[10:11]
	v_cndmask_b32_e32 v3, v2, v3, vcc
; %bb.335:                              ;   in Loop: Header=BB18_9 Depth=1
	s_or_b64 exec, exec, s[2:3]
	v_add_co_u32_e32 v4, vcc, v48, v8
	v_addc_co_u32_e32 v5, vcc, 0, v49, vcc
	global_store_byte v[4:5], v3, off
.LBB18_336:                             ;   in Loop: Header=BB18_9 Depth=1
	s_or_b64 exec, exec, s[4:5]
	v_sub_u32_e32 v15, s57, v24
	v_ashrrev_i32_e32 v2, 31, v15
	v_lshrrev_b32_e32 v2, 29, v2
	v_add_u32_e32 v2, v15, v2
	v_ashrrev_i32_e32 v25, 31, v24
	v_ashrrev_i32_e32 v50, 3, v2
	v_cmp_gt_i32_e32 vcc, v50, v8
	v_lshlrev_b64 v[26:27], 1, v[24:25]
	s_and_saveexec_b64 s[4:5], vcc
	s_cbranch_execz .LBB18_467
; %bb.337:                              ;   in Loop: Header=BB18_9 Depth=1
	v_add_co_u32_e32 v6, vcc, v18, v24
	v_addc_co_u32_e32 v7, vcc, v19, v25, vcc
	v_add_co_u32_e32 v2, vcc, v26, v22
	v_addc_co_u32_e32 v3, vcc, v27, v23, vcc
	;; [unrolled: 2-line block ×3, first 2 shown]
	s_mov_b64 s[6:7], 0
	v_mov_b32_e32 v51, v8
	s_branch .LBB18_339
.LBB18_338:                             ;   in Loop: Header=BB18_339 Depth=2
	s_or_b64 exec, exec, s[2:3]
	v_lshlrev_b32_e32 v4, 16, v40
	v_lshlrev_b32_e32 v3, 24, v42
	v_and_b32_e32 v4, 0xff0000, v4
	v_or_b32_e32 v3, v3, v4
	v_lshlrev_b32_e32 v4, 8, v38
	v_and_b32_e32 v4, 0xff00, v4
	v_and_b32_e32 v5, 0xff, v36
	v_or3_b32 v3, v3, v4, v5
	v_lshlrev_b32_e32 v4, 16, v34
	v_lshlrev_b32_e32 v5, 8, v32
	v_perm_b32 v2, v2, v4, s42
	v_and_or_b32 v2, v5, s41, v2
	v_or_b32_sdwa v2, v2, v30 dst_sel:DWORD dst_unused:UNUSED_PAD src0_sel:DWORD src1_sel:BYTE_0
	global_store_dwordx2 v[6:7], v[2:3], off
	v_add_co_u32_e32 v6, vcc, 0x100, v6
	v_add_u32_e32 v51, 32, v51
	v_addc_co_u32_e32 v7, vcc, 0, v7, vcc
	v_add_co_u32_e32 v28, vcc, 0x200, v28
	v_cmp_ge_i32_e64 s[2:3], v51, v50
	s_or_b64 s[6:7], s[2:3], s[6:7]
	v_addc_co_u32_e32 v29, vcc, 0, v29, vcc
	s_andn2_b64 exec, exec, s[6:7]
	s_cbranch_execz .LBB18_467
.LBB18_339:                             ;   Parent Loop BB18_9 Depth=1
                                        ; =>  This Inner Loop Header: Depth=2
	global_load_dwordx4 v[2:5], v[28:29], off
	v_mov_b32_e32 v35, v11
	s_waitcnt vmcnt(0)
	v_cvt_f32_f16_e32 v10, v2
	v_div_scale_f32 v30, s[2:3], s33, s33, v10
	v_rcp_f32_e32 v31, v30
	v_div_scale_f32 v32, vcc, v10, s33, v10
	v_fma_f32 v33, -v30, v31, 1.0
	v_fmac_f32_e32 v31, v33, v31
	v_mul_f32_e32 v33, v32, v31
	v_fma_f32 v34, -v30, v33, v32
	v_fmac_f32_e32 v33, v34, v31
	v_fma_f32 v30, -v30, v33, v32
	v_div_fmas_f32 v30, v30, v31, v33
	v_div_fixup_f32 v10, v30, s33, v10
	v_cvt_f16_f32_e32 v10, v10
	v_cvt_f32_f16_e32 v33, v10
	v_and_b32_sdwa v32, v33, s58 dst_sel:DWORD dst_unused:UNUSED_PAD src0_sel:BYTE_3 src1_sel:DWORD
	v_and_b32_e32 v34, 0x7f800000, v33
	v_and_b32_e32 v10, 0x7fffff, v33
	v_or_b32_e32 v30, 0x7e, v32
	v_cmp_ne_u64_e32 vcc, s[62:63], v[34:35]
	s_and_saveexec_b64 s[2:3], vcc
	s_xor_b64 s[8:9], exec, s[2:3]
	s_cbranch_execz .LBB18_353
; %bb.340:                              ;   in Loop: Header=BB18_339 Depth=2
	v_and_b32_e32 v34, 0x7fffffff, v33
	v_mov_b32_e32 v35, v11
	v_cmp_gt_u64_e32 vcc, s[64:65], v[34:35]
	s_and_saveexec_b64 s[2:3], vcc
	s_xor_b64 s[10:11], exec, s[2:3]
	s_cbranch_execz .LBB18_352
; %bb.341:                              ;   in Loop: Header=BB18_339 Depth=2
	v_cmp_ne_u32_e32 vcc, 0, v33
	v_pk_mov_b32 v[30:31], 0, 0
	s_and_saveexec_b64 s[12:13], vcc
	s_cbranch_execz .LBB18_351
; %bb.342:                              ;   in Loop: Header=BB18_339 Depth=2
	v_bfe_u32 v30, v33, 23, 8
	v_sub_u32_e32 v33, 0x79, v30
	v_cmp_gt_u32_e32 vcc, s59, v30
	v_cndmask_b32_e32 v33, 0, v33, vcc
	v_cmp_eq_u32_e32 vcc, 0, v30
	v_cndmask_b32_e32 v33, v33, v89, vcc
	v_add_u32_e32 v31, 0xffffff81, v30
	v_or_b32_e32 v34, 0x800000, v10
	v_add_u32_e32 v30, 20, v33
	v_cndmask_b32_e32 v35, v31, v88, vcc
	v_cndmask_b32_e32 v10, v34, v10, vcc
	v_lshlrev_b64 v[30:31], v30, -1
	v_not_b32_e32 v30, v30
	v_lshrrev_b64 v[38:39], v33, v[10:11]
	v_not_b32_e32 v31, v31
	v_and_b32_e32 v30, v10, v30
	v_add_u32_e32 v34, 19, v33
	v_lshrrev_b32_e32 v10, 23, v38
	v_and_b32_e32 v31, 0, v31
	v_lshlrev_b64 v[36:37], v34, 1
	v_add3_u32 v34, v33, v35, v10
	v_bfe_u32 v10, v38, 20, 1
	v_add_u32_e32 v10, -1, v10
	v_cmp_eq_u64_e32 vcc, v[30:31], v[36:37]
	v_cndmask_b32_e32 v10, 0, v10, vcc
	v_add_u32_e32 v10, v10, v38
	v_and_b32_e32 v10, 0xfffff, v10
	v_add_co_u32_e32 v30, vcc, v10, v38
	v_add_u32_e32 v33, 6, v34
	v_addc_co_u32_e32 v31, vcc, 0, v39, vcc
	v_cmp_ne_u32_e32 vcc, 0, v33
                                        ; implicit-def: $vgpr10
	s_and_saveexec_b64 s[2:3], vcc
	s_xor_b64 s[2:3], exec, s[2:3]
; %bb.343:                              ;   in Loop: Header=BB18_339 Depth=2
	v_add_u32_e32 v10, 7, v34
	v_cmp_lt_u64_e32 vcc, s[66:67], v[30:31]
	v_cndmask_b32_e32 v10, v33, v10, vcc
	v_cndmask_b32_e64 v33, 0, 1, vcc
	v_lshrrev_b64 v[30:31], v33, v[30:31]
; %bb.344:                              ;   in Loop: Header=BB18_339 Depth=2
	s_andn2_saveexec_b64 s[2:3], s[2:3]
; %bb.345:                              ;   in Loop: Header=BB18_339 Depth=2
	v_bfe_u32 v10, v30, 23, 1
; %bb.346:                              ;   in Loop: Header=BB18_339 Depth=2
	s_or_b64 exec, exec, s[2:3]
	v_lshrrev_b64 v[30:31], 20, v[30:31]
	v_cmp_gt_i32_e32 vcc, 16, v10
	v_cndmask_b32_e32 v35, 0, v31, vcc
	v_cndmask_b32_e32 v34, 7, v30, vcc
	v_cmp_ne_u32_e32 vcc, 0, v10
	v_cmp_ne_u64_e64 s[2:3], 0, v[34:35]
	s_or_b64 s[2:3], vcc, s[2:3]
                                        ; implicit-def: $vgpr30_vgpr31
	s_and_saveexec_b64 s[14:15], s[2:3]
	s_xor_b64 s[2:3], exec, s[14:15]
; %bb.347:                              ;   in Loop: Header=BB18_339 Depth=2
	v_min_i32_e32 v10, 15, v10
	v_lshl_or_b32 v10, v10, 3, v32
	v_and_or_b32 v30, v34, 7, v10
                                        ; implicit-def: $vgpr32
; %bb.348:                              ;   in Loop: Header=BB18_339 Depth=2
	s_andn2_saveexec_b64 s[2:3], s[2:3]
; %bb.349:                              ;   in Loop: Header=BB18_339 Depth=2
	v_pk_mov_b32 v[30:31], v[32:33], v[32:33] op_sel:[0,1]
; %bb.350:                              ;   in Loop: Header=BB18_339 Depth=2
	s_or_b64 exec, exec, s[2:3]
.LBB18_351:                             ;   in Loop: Header=BB18_339 Depth=2
	s_or_b64 exec, exec, s[12:13]
.LBB18_352:                             ;   in Loop: Header=BB18_339 Depth=2
	s_andn2_saveexec_b64 s[2:3], s[10:11]
	s_or_b64 exec, exec, s[2:3]
                                        ; implicit-def: $vgpr33
.LBB18_353:                             ;   in Loop: Header=BB18_339 Depth=2
	s_andn2_saveexec_b64 s[2:3], s[8:9]
; %bb.354:                              ;   in Loop: Header=BB18_339 Depth=2
	v_or_b32_sdwa v31, v33, s40 dst_sel:DWORD dst_unused:UNUSED_PAD src0_sel:BYTE_3 src1_sel:DWORD
	v_cmp_eq_u64_e32 vcc, 0, v[10:11]
	v_cndmask_b32_e32 v30, v31, v30, vcc
; %bb.355:                              ;   in Loop: Header=BB18_339 Depth=2
	s_or_b64 exec, exec, s[2:3]
	v_cvt_f32_f16_sdwa v2, v2 dst_sel:DWORD dst_unused:UNUSED_PAD src0_sel:WORD_1
	v_mov_b32_e32 v35, v11
	v_div_scale_f32 v10, s[2:3], s33, s33, v2
	v_rcp_f32_e32 v31, v10
	v_div_scale_f32 v32, vcc, v2, s33, v2
	v_fma_f32 v33, -v10, v31, 1.0
	v_fmac_f32_e32 v31, v33, v31
	v_mul_f32_e32 v33, v32, v31
	v_fma_f32 v34, -v10, v33, v32
	v_fmac_f32_e32 v33, v34, v31
	v_fma_f32 v10, -v10, v33, v32
	v_div_fmas_f32 v10, v10, v31, v33
	v_div_fixup_f32 v2, v10, s33, v2
	v_cvt_f16_f32_e32 v2, v2
	v_cvt_f32_f16_e32 v31, v2
	v_and_b32_sdwa v2, v31, s58 dst_sel:DWORD dst_unused:UNUSED_PAD src0_sel:BYTE_3 src1_sel:DWORD
	v_and_b32_e32 v34, 0x7f800000, v31
	v_and_b32_e32 v10, 0x7fffff, v31
	v_or_b32_e32 v32, 0x7e, v2
	v_cmp_ne_u64_e32 vcc, s[62:63], v[34:35]
	s_and_saveexec_b64 s[2:3], vcc
	s_xor_b64 s[8:9], exec, s[2:3]
	s_cbranch_execz .LBB18_369
; %bb.356:                              ;   in Loop: Header=BB18_339 Depth=2
	v_and_b32_e32 v34, 0x7fffffff, v31
	v_mov_b32_e32 v35, v11
	v_cmp_gt_u64_e32 vcc, s[64:65], v[34:35]
	s_and_saveexec_b64 s[2:3], vcc
	s_xor_b64 s[10:11], exec, s[2:3]
	s_cbranch_execz .LBB18_368
; %bb.357:                              ;   in Loop: Header=BB18_339 Depth=2
	v_cmp_ne_u32_e32 vcc, 0, v31
	v_pk_mov_b32 v[32:33], 0, 0
	s_and_saveexec_b64 s[12:13], vcc
	s_cbranch_execz .LBB18_367
; %bb.358:                              ;   in Loop: Header=BB18_339 Depth=2
	v_bfe_u32 v31, v31, 23, 8
	v_sub_u32_e32 v33, 0x79, v31
	v_cmp_gt_u32_e32 vcc, s59, v31
	v_cndmask_b32_e32 v33, 0, v33, vcc
	v_cmp_eq_u32_e32 vcc, 0, v31
	v_add_u32_e32 v32, 0xffffff81, v31
	v_cndmask_b32_e32 v35, v33, v89, vcc
	v_or_b32_e32 v34, 0x800000, v10
	v_cndmask_b32_e32 v31, v32, v88, vcc
	v_add_u32_e32 v32, 20, v35
	v_cndmask_b32_e32 v10, v34, v10, vcc
	v_lshlrev_b64 v[32:33], v32, -1
	v_not_b32_e32 v32, v32
	v_lshrrev_b64 v[38:39], v35, v[10:11]
	v_not_b32_e32 v33, v33
	v_and_b32_e32 v32, v10, v32
	v_add_u32_e32 v34, 19, v35
	v_lshrrev_b32_e32 v10, 23, v38
	v_and_b32_e32 v33, 0, v33
	v_lshlrev_b64 v[36:37], v34, 1
	v_add3_u32 v34, v35, v31, v10
	v_bfe_u32 v10, v38, 20, 1
	v_add_u32_e32 v10, -1, v10
	v_cmp_eq_u64_e32 vcc, v[32:33], v[36:37]
	v_cndmask_b32_e32 v10, 0, v10, vcc
	v_add_u32_e32 v10, v10, v38
	v_and_b32_e32 v10, 0xfffff, v10
	v_add_co_u32_e32 v32, vcc, v10, v38
	v_add_u32_e32 v31, 6, v34
	v_addc_co_u32_e32 v33, vcc, 0, v39, vcc
	v_cmp_ne_u32_e32 vcc, 0, v31
                                        ; implicit-def: $vgpr10
	s_and_saveexec_b64 s[2:3], vcc
	s_xor_b64 s[2:3], exec, s[2:3]
; %bb.359:                              ;   in Loop: Header=BB18_339 Depth=2
	v_add_u32_e32 v10, 7, v34
	v_cmp_lt_u64_e32 vcc, s[66:67], v[32:33]
	v_cndmask_b32_e32 v10, v31, v10, vcc
	v_cndmask_b32_e64 v31, 0, 1, vcc
	v_lshrrev_b64 v[32:33], v31, v[32:33]
; %bb.360:                              ;   in Loop: Header=BB18_339 Depth=2
	s_andn2_saveexec_b64 s[2:3], s[2:3]
; %bb.361:                              ;   in Loop: Header=BB18_339 Depth=2
	v_bfe_u32 v10, v32, 23, 1
; %bb.362:                              ;   in Loop: Header=BB18_339 Depth=2
	s_or_b64 exec, exec, s[2:3]
	v_lshrrev_b64 v[32:33], 20, v[32:33]
	v_cmp_gt_i32_e32 vcc, 16, v10
	v_cndmask_b32_e32 v35, 0, v33, vcc
	v_cndmask_b32_e32 v34, 7, v32, vcc
	v_cmp_ne_u32_e32 vcc, 0, v10
	v_cmp_ne_u64_e64 s[2:3], 0, v[34:35]
	s_or_b64 s[2:3], vcc, s[2:3]
                                        ; implicit-def: $vgpr32_vgpr33
	s_and_saveexec_b64 s[14:15], s[2:3]
	s_xor_b64 s[2:3], exec, s[14:15]
; %bb.363:                              ;   in Loop: Header=BB18_339 Depth=2
	v_min_i32_e32 v10, 15, v10
	v_lshl_or_b32 v2, v10, 3, v2
	v_and_or_b32 v32, v34, 7, v2
                                        ; implicit-def: $vgpr2
; %bb.364:                              ;   in Loop: Header=BB18_339 Depth=2
	s_andn2_saveexec_b64 s[2:3], s[2:3]
; %bb.365:                              ;   in Loop: Header=BB18_339 Depth=2
	v_pk_mov_b32 v[32:33], v[2:3], v[2:3] op_sel:[0,1]
; %bb.366:                              ;   in Loop: Header=BB18_339 Depth=2
	s_or_b64 exec, exec, s[2:3]
.LBB18_367:                             ;   in Loop: Header=BB18_339 Depth=2
	s_or_b64 exec, exec, s[12:13]
.LBB18_368:                             ;   in Loop: Header=BB18_339 Depth=2
	s_andn2_saveexec_b64 s[2:3], s[10:11]
	s_or_b64 exec, exec, s[2:3]
                                        ; implicit-def: $vgpr31
.LBB18_369:                             ;   in Loop: Header=BB18_339 Depth=2
	s_andn2_saveexec_b64 s[2:3], s[8:9]
; %bb.370:                              ;   in Loop: Header=BB18_339 Depth=2
	v_or_b32_sdwa v2, v31, s40 dst_sel:DWORD dst_unused:UNUSED_PAD src0_sel:BYTE_3 src1_sel:DWORD
	v_cmp_eq_u64_e32 vcc, 0, v[10:11]
	v_cndmask_b32_e32 v32, v2, v32, vcc
; %bb.371:                              ;   in Loop: Header=BB18_339 Depth=2
	s_or_b64 exec, exec, s[2:3]
	v_cvt_f32_f16_e32 v2, v3
	v_mov_b32_e32 v37, v11
	v_div_scale_f32 v10, s[2:3], s33, s33, v2
	v_rcp_f32_e32 v31, v10
	v_div_scale_f32 v33, vcc, v2, s33, v2
	v_fma_f32 v34, -v10, v31, 1.0
	v_fmac_f32_e32 v31, v34, v31
	v_mul_f32_e32 v34, v33, v31
	v_fma_f32 v35, -v10, v34, v33
	v_fmac_f32_e32 v34, v35, v31
	v_fma_f32 v10, -v10, v34, v33
	v_div_fmas_f32 v10, v10, v31, v34
	v_div_fixup_f32 v2, v10, s33, v2
	v_cvt_f16_f32_e32 v2, v2
	v_cvt_f32_f16_e32 v31, v2
	v_and_b32_sdwa v2, v31, s58 dst_sel:DWORD dst_unused:UNUSED_PAD src0_sel:BYTE_3 src1_sel:DWORD
	v_and_b32_e32 v36, 0x7f800000, v31
	v_and_b32_e32 v10, 0x7fffff, v31
	v_or_b32_e32 v34, 0x7e, v2
	v_cmp_ne_u64_e32 vcc, s[62:63], v[36:37]
	s_and_saveexec_b64 s[2:3], vcc
	s_xor_b64 s[8:9], exec, s[2:3]
	s_cbranch_execz .LBB18_385
; %bb.372:                              ;   in Loop: Header=BB18_339 Depth=2
	v_and_b32_e32 v36, 0x7fffffff, v31
	v_mov_b32_e32 v37, v11
	v_cmp_gt_u64_e32 vcc, s[64:65], v[36:37]
	s_and_saveexec_b64 s[2:3], vcc
	s_xor_b64 s[10:11], exec, s[2:3]
	s_cbranch_execz .LBB18_384
; %bb.373:                              ;   in Loop: Header=BB18_339 Depth=2
	v_cmp_ne_u32_e32 vcc, 0, v31
	v_pk_mov_b32 v[34:35], 0, 0
	s_and_saveexec_b64 s[12:13], vcc
	s_cbranch_execz .LBB18_383
; %bb.374:                              ;   in Loop: Header=BB18_339 Depth=2
	v_bfe_u32 v31, v31, 23, 8
	v_sub_u32_e32 v34, 0x79, v31
	v_cmp_gt_u32_e32 vcc, s59, v31
	v_add_u32_e32 v33, 0xffffff81, v31
	v_cndmask_b32_e32 v34, 0, v34, vcc
	v_cmp_eq_u32_e32 vcc, 0, v31
	v_cndmask_b32_e32 v31, v33, v88, vcc
	v_cndmask_b32_e32 v33, v34, v89, vcc
	v_or_b32_e32 v35, 0x800000, v10
	v_add_u32_e32 v34, 20, v33
	v_cndmask_b32_e32 v10, v35, v10, vcc
	v_lshlrev_b64 v[34:35], v34, -1
	v_not_b32_e32 v34, v34
	v_lshrrev_b64 v[38:39], v33, v[10:11]
	v_not_b32_e32 v35, v35
	v_and_b32_e32 v34, v10, v34
	v_add_u32_e32 v36, 19, v33
	v_lshrrev_b32_e32 v10, 23, v38
	v_and_b32_e32 v35, 0, v35
	v_lshlrev_b64 v[36:37], v36, 1
	v_add3_u32 v33, v33, v31, v10
	v_bfe_u32 v10, v38, 20, 1
	v_add_u32_e32 v10, -1, v10
	v_cmp_eq_u64_e32 vcc, v[34:35], v[36:37]
	v_cndmask_b32_e32 v10, 0, v10, vcc
	v_add_u32_e32 v10, v10, v38
	v_and_b32_e32 v10, 0xfffff, v10
	v_add_co_u32_e32 v34, vcc, v10, v38
	v_add_u32_e32 v31, 6, v33
	v_addc_co_u32_e32 v35, vcc, 0, v39, vcc
	v_cmp_ne_u32_e32 vcc, 0, v31
                                        ; implicit-def: $vgpr10
	s_and_saveexec_b64 s[2:3], vcc
	s_xor_b64 s[2:3], exec, s[2:3]
; %bb.375:                              ;   in Loop: Header=BB18_339 Depth=2
	v_add_u32_e32 v10, 7, v33
	v_cmp_lt_u64_e32 vcc, s[66:67], v[34:35]
	v_cndmask_b32_e32 v10, v31, v10, vcc
	v_cndmask_b32_e64 v31, 0, 1, vcc
	v_lshrrev_b64 v[34:35], v31, v[34:35]
; %bb.376:                              ;   in Loop: Header=BB18_339 Depth=2
	s_andn2_saveexec_b64 s[2:3], s[2:3]
; %bb.377:                              ;   in Loop: Header=BB18_339 Depth=2
	v_bfe_u32 v10, v34, 23, 1
; %bb.378:                              ;   in Loop: Header=BB18_339 Depth=2
	s_or_b64 exec, exec, s[2:3]
	v_lshrrev_b64 v[34:35], 20, v[34:35]
	v_cmp_gt_i32_e32 vcc, 16, v10
	v_cndmask_b32_e32 v37, 0, v35, vcc
	v_cndmask_b32_e32 v36, 7, v34, vcc
	v_cmp_ne_u32_e32 vcc, 0, v10
	v_cmp_ne_u64_e64 s[2:3], 0, v[36:37]
	s_or_b64 s[2:3], vcc, s[2:3]
                                        ; implicit-def: $vgpr34_vgpr35
	s_and_saveexec_b64 s[14:15], s[2:3]
	s_xor_b64 s[2:3], exec, s[14:15]
; %bb.379:                              ;   in Loop: Header=BB18_339 Depth=2
	v_min_i32_e32 v10, 15, v10
	v_lshl_or_b32 v2, v10, 3, v2
	v_and_or_b32 v34, v36, 7, v2
                                        ; implicit-def: $vgpr2
; %bb.380:                              ;   in Loop: Header=BB18_339 Depth=2
	s_andn2_saveexec_b64 s[2:3], s[2:3]
; %bb.381:                              ;   in Loop: Header=BB18_339 Depth=2
	v_pk_mov_b32 v[34:35], v[2:3], v[2:3] op_sel:[0,1]
; %bb.382:                              ;   in Loop: Header=BB18_339 Depth=2
	s_or_b64 exec, exec, s[2:3]
.LBB18_383:                             ;   in Loop: Header=BB18_339 Depth=2
	s_or_b64 exec, exec, s[12:13]
.LBB18_384:                             ;   in Loop: Header=BB18_339 Depth=2
	s_andn2_saveexec_b64 s[2:3], s[10:11]
	s_or_b64 exec, exec, s[2:3]
                                        ; implicit-def: $vgpr31
.LBB18_385:                             ;   in Loop: Header=BB18_339 Depth=2
	s_andn2_saveexec_b64 s[2:3], s[8:9]
; %bb.386:                              ;   in Loop: Header=BB18_339 Depth=2
	v_or_b32_sdwa v2, v31, s40 dst_sel:DWORD dst_unused:UNUSED_PAD src0_sel:BYTE_3 src1_sel:DWORD
	v_cmp_eq_u64_e32 vcc, 0, v[10:11]
	v_cndmask_b32_e32 v34, v2, v34, vcc
; %bb.387:                              ;   in Loop: Header=BB18_339 Depth=2
	s_or_b64 exec, exec, s[2:3]
	v_cvt_f32_f16_sdwa v2, v3 dst_sel:DWORD dst_unused:UNUSED_PAD src0_sel:WORD_1
	v_mov_b32_e32 v39, v11
	v_div_scale_f32 v3, s[2:3], s33, s33, v2
	v_rcp_f32_e32 v10, v3
	v_div_scale_f32 v31, vcc, v2, s33, v2
	v_fma_f32 v33, -v3, v10, 1.0
	v_fmac_f32_e32 v10, v33, v10
	v_mul_f32_e32 v33, v31, v10
	v_fma_f32 v35, -v3, v33, v31
	v_fmac_f32_e32 v33, v35, v10
	v_fma_f32 v3, -v3, v33, v31
	v_div_fmas_f32 v3, v3, v10, v33
	v_div_fixup_f32 v2, v3, s33, v2
	v_cvt_f16_f32_e32 v2, v2
	v_cvt_f32_f16_e32 v31, v2
	v_and_b32_sdwa v36, v31, s58 dst_sel:DWORD dst_unused:UNUSED_PAD src0_sel:BYTE_3 src1_sel:DWORD
	v_and_b32_e32 v38, 0x7f800000, v31
	v_and_b32_e32 v10, 0x7fffff, v31
	v_or_b32_e32 v2, 0x7e, v36
	v_cmp_ne_u64_e32 vcc, s[62:63], v[38:39]
	s_and_saveexec_b64 s[2:3], vcc
	s_xor_b64 s[8:9], exec, s[2:3]
	s_cbranch_execz .LBB18_401
; %bb.388:                              ;   in Loop: Header=BB18_339 Depth=2
	v_and_b32_e32 v38, 0x7fffffff, v31
	v_mov_b32_e32 v39, v11
	v_cmp_gt_u64_e32 vcc, s[64:65], v[38:39]
	s_and_saveexec_b64 s[2:3], vcc
	s_xor_b64 s[10:11], exec, s[2:3]
	s_cbranch_execz .LBB18_400
; %bb.389:                              ;   in Loop: Header=BB18_339 Depth=2
	v_cmp_ne_u32_e32 vcc, 0, v31
	v_pk_mov_b32 v[2:3], 0, 0
	s_and_saveexec_b64 s[12:13], vcc
	s_cbranch_execz .LBB18_399
; %bb.390:                              ;   in Loop: Header=BB18_339 Depth=2
	v_bfe_u32 v2, v31, 23, 8
	v_sub_u32_e32 v31, 0x79, v2
	v_cmp_gt_u32_e32 vcc, s59, v2
	v_cndmask_b32_e32 v31, 0, v31, vcc
	v_cmp_eq_u32_e32 vcc, 0, v2
	v_cndmask_b32_e32 v31, v31, v89, vcc
	v_add_u32_e32 v3, 0xffffff81, v2
	v_or_b32_e32 v33, 0x800000, v10
	v_add_u32_e32 v2, 20, v31
	v_cndmask_b32_e32 v35, v3, v88, vcc
	v_cndmask_b32_e32 v10, v33, v10, vcc
	v_lshlrev_b64 v[2:3], v2, -1
	v_not_b32_e32 v2, v2
	v_lshrrev_b64 v[40:41], v31, v[10:11]
	v_not_b32_e32 v3, v3
	v_and_b32_e32 v2, v10, v2
	v_add_u32_e32 v33, 19, v31
	v_lshrrev_b32_e32 v10, 23, v40
	v_and_b32_e32 v3, 0, v3
	v_lshlrev_b64 v[38:39], v33, 1
	v_add3_u32 v33, v31, v35, v10
	v_bfe_u32 v10, v40, 20, 1
	v_add_u32_e32 v10, -1, v10
	v_cmp_eq_u64_e32 vcc, v[2:3], v[38:39]
	v_cndmask_b32_e32 v2, 0, v10, vcc
	v_add_u32_e32 v2, v2, v40
	v_and_b32_e32 v2, 0xfffff, v2
	v_add_co_u32_e32 v2, vcc, v2, v40
	v_add_u32_e32 v31, 6, v33
	v_addc_co_u32_e32 v3, vcc, 0, v41, vcc
	v_cmp_ne_u32_e32 vcc, 0, v31
                                        ; implicit-def: $vgpr10
	s_and_saveexec_b64 s[2:3], vcc
	s_xor_b64 s[2:3], exec, s[2:3]
; %bb.391:                              ;   in Loop: Header=BB18_339 Depth=2
	v_add_u32_e32 v10, 7, v33
	v_cmp_lt_u64_e32 vcc, s[66:67], v[2:3]
	v_cndmask_b32_e32 v10, v31, v10, vcc
	v_cndmask_b32_e64 v31, 0, 1, vcc
	v_lshrrev_b64 v[2:3], v31, v[2:3]
; %bb.392:                              ;   in Loop: Header=BB18_339 Depth=2
	s_andn2_saveexec_b64 s[2:3], s[2:3]
; %bb.393:                              ;   in Loop: Header=BB18_339 Depth=2
	v_bfe_u32 v10, v2, 23, 1
; %bb.394:                              ;   in Loop: Header=BB18_339 Depth=2
	s_or_b64 exec, exec, s[2:3]
	v_lshrrev_b64 v[2:3], 20, v[2:3]
	v_cmp_gt_i32_e32 vcc, 16, v10
	v_cndmask_b32_e32 v39, 0, v3, vcc
	v_cndmask_b32_e32 v38, 7, v2, vcc
	v_cmp_ne_u32_e32 vcc, 0, v10
	v_cmp_ne_u64_e64 s[2:3], 0, v[38:39]
	s_or_b64 s[2:3], vcc, s[2:3]
                                        ; implicit-def: $vgpr2_vgpr3
	s_and_saveexec_b64 s[14:15], s[2:3]
	s_xor_b64 s[2:3], exec, s[14:15]
; %bb.395:                              ;   in Loop: Header=BB18_339 Depth=2
	v_min_i32_e32 v2, 15, v10
	v_lshl_or_b32 v2, v2, 3, v36
	v_and_or_b32 v2, v38, 7, v2
                                        ; implicit-def: $vgpr36
; %bb.396:                              ;   in Loop: Header=BB18_339 Depth=2
	s_andn2_saveexec_b64 s[2:3], s[2:3]
; %bb.397:                              ;   in Loop: Header=BB18_339 Depth=2
	v_pk_mov_b32 v[2:3], v[36:37], v[36:37] op_sel:[0,1]
; %bb.398:                              ;   in Loop: Header=BB18_339 Depth=2
	s_or_b64 exec, exec, s[2:3]
.LBB18_399:                             ;   in Loop: Header=BB18_339 Depth=2
	s_or_b64 exec, exec, s[12:13]
.LBB18_400:                             ;   in Loop: Header=BB18_339 Depth=2
	s_andn2_saveexec_b64 s[2:3], s[10:11]
	s_or_b64 exec, exec, s[2:3]
                                        ; implicit-def: $vgpr31
.LBB18_401:                             ;   in Loop: Header=BB18_339 Depth=2
	s_andn2_saveexec_b64 s[2:3], s[8:9]
; %bb.402:                              ;   in Loop: Header=BB18_339 Depth=2
	v_or_b32_sdwa v3, v31, s40 dst_sel:DWORD dst_unused:UNUSED_PAD src0_sel:BYTE_3 src1_sel:DWORD
	v_cmp_eq_u64_e32 vcc, 0, v[10:11]
	v_cndmask_b32_e32 v2, v3, v2, vcc
; %bb.403:                              ;   in Loop: Header=BB18_339 Depth=2
	s_or_b64 exec, exec, s[2:3]
	v_cvt_f32_f16_e32 v3, v4
	v_mov_b32_e32 v41, v11
	v_div_scale_f32 v10, s[2:3], s33, s33, v3
	v_rcp_f32_e32 v31, v10
	v_div_scale_f32 v33, vcc, v3, s33, v3
	v_fma_f32 v35, -v10, v31, 1.0
	v_fmac_f32_e32 v31, v35, v31
	v_mul_f32_e32 v35, v33, v31
	v_fma_f32 v36, -v10, v35, v33
	v_fmac_f32_e32 v35, v36, v31
	v_fma_f32 v10, -v10, v35, v33
	v_div_fmas_f32 v10, v10, v31, v35
	v_div_fixup_f32 v3, v10, s33, v3
	v_cvt_f16_f32_e32 v3, v3
	v_cvt_f32_f16_e32 v3, v3
	v_and_b32_sdwa v38, v3, s58 dst_sel:DWORD dst_unused:UNUSED_PAD src0_sel:BYTE_3 src1_sel:DWORD
	v_and_b32_e32 v40, 0x7f800000, v3
	v_and_b32_e32 v10, 0x7fffff, v3
	v_or_b32_e32 v36, 0x7e, v38
	v_cmp_ne_u64_e32 vcc, s[62:63], v[40:41]
	s_and_saveexec_b64 s[2:3], vcc
	s_xor_b64 s[8:9], exec, s[2:3]
	s_cbranch_execz .LBB18_417
; %bb.404:                              ;   in Loop: Header=BB18_339 Depth=2
	v_and_b32_e32 v40, 0x7fffffff, v3
	v_mov_b32_e32 v41, v11
	v_cmp_gt_u64_e32 vcc, s[64:65], v[40:41]
	s_and_saveexec_b64 s[2:3], vcc
	s_xor_b64 s[10:11], exec, s[2:3]
	s_cbranch_execz .LBB18_416
; %bb.405:                              ;   in Loop: Header=BB18_339 Depth=2
	v_cmp_ne_u32_e32 vcc, 0, v3
	v_pk_mov_b32 v[36:37], 0, 0
	s_and_saveexec_b64 s[12:13], vcc
	s_cbranch_execz .LBB18_415
; %bb.406:                              ;   in Loop: Header=BB18_339 Depth=2
	v_bfe_u32 v3, v3, 23, 8
	v_sub_u32_e32 v33, 0x79, v3
	v_cmp_gt_u32_e32 vcc, s59, v3
	v_add_u32_e32 v31, 0xffffff81, v3
	v_cndmask_b32_e32 v33, 0, v33, vcc
	v_cmp_eq_u32_e32 vcc, 0, v3
	v_cndmask_b32_e32 v3, v31, v88, vcc
	v_cndmask_b32_e32 v31, v33, v89, vcc
	v_or_b32_e32 v35, 0x800000, v10
	v_add_u32_e32 v33, 20, v31
	v_cndmask_b32_e32 v10, v35, v10, vcc
	v_lshlrev_b64 v[36:37], v33, -1
	v_not_b32_e32 v33, v37
	v_not_b32_e32 v35, v36
	v_lshrrev_b64 v[42:43], v31, v[10:11]
	v_and_b32_e32 v37, 0, v33
	v_and_b32_e32 v36, v10, v35
	v_add_u32_e32 v33, 19, v31
	v_lshrrev_b32_e32 v10, 23, v42
	v_lshlrev_b64 v[40:41], v33, 1
	v_add3_u32 v31, v31, v3, v10
	v_bfe_u32 v3, v42, 20, 1
	v_add_u32_e32 v3, -1, v3
	v_cmp_eq_u64_e32 vcc, v[36:37], v[40:41]
	v_cndmask_b32_e32 v3, 0, v3, vcc
	v_add_u32_e32 v3, v3, v42
	v_and_b32_e32 v3, 0xfffff, v3
	v_add_co_u32_e32 v36, vcc, v3, v42
	v_add_u32_e32 v10, 6, v31
	v_addc_co_u32_e32 v37, vcc, 0, v43, vcc
	v_cmp_ne_u32_e32 vcc, 0, v10
                                        ; implicit-def: $vgpr3
	s_and_saveexec_b64 s[2:3], vcc
	s_xor_b64 s[2:3], exec, s[2:3]
; %bb.407:                              ;   in Loop: Header=BB18_339 Depth=2
	v_add_u32_e32 v3, 7, v31
	v_cmp_lt_u64_e32 vcc, s[66:67], v[36:37]
	v_cndmask_b32_e32 v3, v10, v3, vcc
	v_cndmask_b32_e64 v10, 0, 1, vcc
	v_lshrrev_b64 v[36:37], v10, v[36:37]
; %bb.408:                              ;   in Loop: Header=BB18_339 Depth=2
	s_andn2_saveexec_b64 s[2:3], s[2:3]
; %bb.409:                              ;   in Loop: Header=BB18_339 Depth=2
	v_bfe_u32 v3, v36, 23, 1
; %bb.410:                              ;   in Loop: Header=BB18_339 Depth=2
	s_or_b64 exec, exec, s[2:3]
	v_lshrrev_b64 v[36:37], 20, v[36:37]
	v_cmp_gt_i32_e32 vcc, 16, v3
	v_cndmask_b32_e32 v41, 0, v37, vcc
	v_cndmask_b32_e32 v40, 7, v36, vcc
	v_cmp_ne_u32_e32 vcc, 0, v3
	v_cmp_ne_u64_e64 s[2:3], 0, v[40:41]
	s_or_b64 s[2:3], vcc, s[2:3]
                                        ; implicit-def: $vgpr36_vgpr37
	s_and_saveexec_b64 s[14:15], s[2:3]
	s_xor_b64 s[2:3], exec, s[14:15]
; %bb.411:                              ;   in Loop: Header=BB18_339 Depth=2
	v_min_i32_e32 v3, 15, v3
	v_lshl_or_b32 v3, v3, 3, v38
	v_and_or_b32 v36, v40, 7, v3
                                        ; implicit-def: $vgpr38
; %bb.412:                              ;   in Loop: Header=BB18_339 Depth=2
	s_andn2_saveexec_b64 s[2:3], s[2:3]
; %bb.413:                              ;   in Loop: Header=BB18_339 Depth=2
	v_pk_mov_b32 v[36:37], v[38:39], v[38:39] op_sel:[0,1]
; %bb.414:                              ;   in Loop: Header=BB18_339 Depth=2
	s_or_b64 exec, exec, s[2:3]
.LBB18_415:                             ;   in Loop: Header=BB18_339 Depth=2
	s_or_b64 exec, exec, s[12:13]
.LBB18_416:                             ;   in Loop: Header=BB18_339 Depth=2
	s_andn2_saveexec_b64 s[2:3], s[10:11]
	s_or_b64 exec, exec, s[2:3]
                                        ; implicit-def: $vgpr3
.LBB18_417:                             ;   in Loop: Header=BB18_339 Depth=2
	s_andn2_saveexec_b64 s[2:3], s[8:9]
; %bb.418:                              ;   in Loop: Header=BB18_339 Depth=2
	v_or_b32_sdwa v3, v3, s40 dst_sel:DWORD dst_unused:UNUSED_PAD src0_sel:BYTE_3 src1_sel:DWORD
	v_cmp_eq_u64_e32 vcc, 0, v[10:11]
	v_cndmask_b32_e32 v36, v3, v36, vcc
; %bb.419:                              ;   in Loop: Header=BB18_339 Depth=2
	s_or_b64 exec, exec, s[2:3]
	v_cvt_f32_f16_sdwa v3, v4 dst_sel:DWORD dst_unused:UNUSED_PAD src0_sel:WORD_1
	v_mov_b32_e32 v41, v11
	v_div_scale_f32 v4, s[2:3], s33, s33, v3
	v_rcp_f32_e32 v10, v4
	v_div_scale_f32 v31, vcc, v3, s33, v3
	v_fma_f32 v33, -v4, v10, 1.0
	v_fmac_f32_e32 v10, v33, v10
	v_mul_f32_e32 v33, v31, v10
	v_fma_f32 v35, -v4, v33, v31
	v_fmac_f32_e32 v33, v35, v10
	v_fma_f32 v4, -v4, v33, v31
	v_div_fmas_f32 v4, v4, v10, v33
	v_div_fixup_f32 v3, v4, s33, v3
	v_cvt_f16_f32_e32 v3, v3
	v_cvt_f32_f16_e32 v3, v3
	v_and_b32_sdwa v4, v3, s58 dst_sel:DWORD dst_unused:UNUSED_PAD src0_sel:BYTE_3 src1_sel:DWORD
	v_and_b32_e32 v40, 0x7f800000, v3
	v_and_b32_e32 v10, 0x7fffff, v3
	v_or_b32_e32 v38, 0x7e, v4
	v_cmp_ne_u64_e32 vcc, s[62:63], v[40:41]
	s_and_saveexec_b64 s[2:3], vcc
	s_xor_b64 s[8:9], exec, s[2:3]
	s_cbranch_execz .LBB18_433
; %bb.420:                              ;   in Loop: Header=BB18_339 Depth=2
	v_and_b32_e32 v40, 0x7fffffff, v3
	v_mov_b32_e32 v41, v11
	v_cmp_gt_u64_e32 vcc, s[64:65], v[40:41]
	s_and_saveexec_b64 s[2:3], vcc
	s_xor_b64 s[10:11], exec, s[2:3]
	s_cbranch_execz .LBB18_432
; %bb.421:                              ;   in Loop: Header=BB18_339 Depth=2
	v_cmp_ne_u32_e32 vcc, 0, v3
	v_pk_mov_b32 v[38:39], 0, 0
	s_and_saveexec_b64 s[12:13], vcc
	s_cbranch_execz .LBB18_431
; %bb.422:                              ;   in Loop: Header=BB18_339 Depth=2
	v_bfe_u32 v3, v3, 23, 8
	v_sub_u32_e32 v33, 0x79, v3
	v_cmp_gt_u32_e32 vcc, s59, v3
	v_add_u32_e32 v31, 0xffffff81, v3
	v_cndmask_b32_e32 v33, 0, v33, vcc
	v_cmp_eq_u32_e32 vcc, 0, v3
	v_cndmask_b32_e32 v3, v31, v88, vcc
	v_cndmask_b32_e32 v31, v33, v89, vcc
	v_or_b32_e32 v35, 0x800000, v10
	v_add_u32_e32 v33, 20, v31
	v_cndmask_b32_e32 v10, v35, v10, vcc
	v_lshlrev_b64 v[38:39], v33, -1
	v_not_b32_e32 v33, v39
	v_not_b32_e32 v35, v38
	v_lshrrev_b64 v[42:43], v31, v[10:11]
	v_and_b32_e32 v39, 0, v33
	v_and_b32_e32 v38, v10, v35
	v_add_u32_e32 v33, 19, v31
	v_lshrrev_b32_e32 v10, 23, v42
	v_lshlrev_b64 v[40:41], v33, 1
	v_add3_u32 v31, v31, v3, v10
	v_bfe_u32 v3, v42, 20, 1
	v_add_u32_e32 v3, -1, v3
	v_cmp_eq_u64_e32 vcc, v[38:39], v[40:41]
	v_cndmask_b32_e32 v3, 0, v3, vcc
	v_add_u32_e32 v3, v3, v42
	v_and_b32_e32 v3, 0xfffff, v3
	v_add_co_u32_e32 v38, vcc, v3, v42
	v_add_u32_e32 v10, 6, v31
	v_addc_co_u32_e32 v39, vcc, 0, v43, vcc
	v_cmp_ne_u32_e32 vcc, 0, v10
                                        ; implicit-def: $vgpr3
	s_and_saveexec_b64 s[2:3], vcc
	s_xor_b64 s[2:3], exec, s[2:3]
; %bb.423:                              ;   in Loop: Header=BB18_339 Depth=2
	v_add_u32_e32 v3, 7, v31
	v_cmp_lt_u64_e32 vcc, s[66:67], v[38:39]
	v_cndmask_b32_e32 v3, v10, v3, vcc
	v_cndmask_b32_e64 v10, 0, 1, vcc
	v_lshrrev_b64 v[38:39], v10, v[38:39]
; %bb.424:                              ;   in Loop: Header=BB18_339 Depth=2
	s_andn2_saveexec_b64 s[2:3], s[2:3]
; %bb.425:                              ;   in Loop: Header=BB18_339 Depth=2
	v_bfe_u32 v3, v38, 23, 1
; %bb.426:                              ;   in Loop: Header=BB18_339 Depth=2
	s_or_b64 exec, exec, s[2:3]
	v_lshrrev_b64 v[38:39], 20, v[38:39]
	v_cmp_gt_i32_e32 vcc, 16, v3
	v_cndmask_b32_e32 v41, 0, v39, vcc
	v_cndmask_b32_e32 v40, 7, v38, vcc
	v_cmp_ne_u32_e32 vcc, 0, v3
	v_cmp_ne_u64_e64 s[2:3], 0, v[40:41]
	s_or_b64 s[2:3], vcc, s[2:3]
                                        ; implicit-def: $vgpr38_vgpr39
	s_and_saveexec_b64 s[14:15], s[2:3]
	s_xor_b64 s[2:3], exec, s[14:15]
; %bb.427:                              ;   in Loop: Header=BB18_339 Depth=2
	v_min_i32_e32 v3, 15, v3
	v_lshl_or_b32 v3, v3, 3, v4
	v_and_or_b32 v38, v40, 7, v3
                                        ; implicit-def: $vgpr4
; %bb.428:                              ;   in Loop: Header=BB18_339 Depth=2
	s_andn2_saveexec_b64 s[2:3], s[2:3]
; %bb.429:                              ;   in Loop: Header=BB18_339 Depth=2
	v_pk_mov_b32 v[38:39], v[4:5], v[4:5] op_sel:[0,1]
; %bb.430:                              ;   in Loop: Header=BB18_339 Depth=2
	s_or_b64 exec, exec, s[2:3]
.LBB18_431:                             ;   in Loop: Header=BB18_339 Depth=2
	s_or_b64 exec, exec, s[12:13]
.LBB18_432:                             ;   in Loop: Header=BB18_339 Depth=2
	s_andn2_saveexec_b64 s[2:3], s[10:11]
	s_or_b64 exec, exec, s[2:3]
                                        ; implicit-def: $vgpr3
.LBB18_433:                             ;   in Loop: Header=BB18_339 Depth=2
	s_andn2_saveexec_b64 s[2:3], s[8:9]
; %bb.434:                              ;   in Loop: Header=BB18_339 Depth=2
	v_or_b32_sdwa v3, v3, s40 dst_sel:DWORD dst_unused:UNUSED_PAD src0_sel:BYTE_3 src1_sel:DWORD
	v_cmp_eq_u64_e32 vcc, 0, v[10:11]
	v_cndmask_b32_e32 v38, v3, v38, vcc
; %bb.435:                              ;   in Loop: Header=BB18_339 Depth=2
	s_or_b64 exec, exec, s[2:3]
	v_cvt_f32_f16_e32 v3, v5
	v_mov_b32_e32 v43, v11
	v_div_scale_f32 v4, s[2:3], s33, s33, v3
	v_rcp_f32_e32 v10, v4
	v_div_scale_f32 v31, vcc, v3, s33, v3
	v_fma_f32 v33, -v4, v10, 1.0
	v_fmac_f32_e32 v10, v33, v10
	v_mul_f32_e32 v33, v31, v10
	v_fma_f32 v35, -v4, v33, v31
	v_fmac_f32_e32 v33, v35, v10
	v_fma_f32 v4, -v4, v33, v31
	v_div_fmas_f32 v4, v4, v10, v33
	v_div_fixup_f32 v3, v4, s33, v3
	v_cvt_f16_f32_e32 v3, v3
	v_cvt_f32_f16_e32 v3, v3
	v_and_b32_sdwa v4, v3, s58 dst_sel:DWORD dst_unused:UNUSED_PAD src0_sel:BYTE_3 src1_sel:DWORD
	v_and_b32_e32 v42, 0x7f800000, v3
	v_and_b32_e32 v10, 0x7fffff, v3
	v_or_b32_e32 v40, 0x7e, v4
	v_cmp_ne_u64_e32 vcc, s[62:63], v[42:43]
	s_and_saveexec_b64 s[2:3], vcc
	s_xor_b64 s[8:9], exec, s[2:3]
	s_cbranch_execz .LBB18_449
; %bb.436:                              ;   in Loop: Header=BB18_339 Depth=2
	v_and_b32_e32 v42, 0x7fffffff, v3
	v_mov_b32_e32 v43, v11
	v_cmp_gt_u64_e32 vcc, s[64:65], v[42:43]
	s_and_saveexec_b64 s[2:3], vcc
	s_xor_b64 s[10:11], exec, s[2:3]
	s_cbranch_execz .LBB18_448
; %bb.437:                              ;   in Loop: Header=BB18_339 Depth=2
	v_cmp_ne_u32_e32 vcc, 0, v3
	v_pk_mov_b32 v[40:41], 0, 0
	s_and_saveexec_b64 s[12:13], vcc
	s_cbranch_execz .LBB18_447
; %bb.438:                              ;   in Loop: Header=BB18_339 Depth=2
	v_bfe_u32 v3, v3, 23, 8
	v_sub_u32_e32 v33, 0x79, v3
	v_cmp_gt_u32_e32 vcc, s59, v3
	v_add_u32_e32 v31, 0xffffff81, v3
	v_cndmask_b32_e32 v33, 0, v33, vcc
	v_cmp_eq_u32_e32 vcc, 0, v3
	v_cndmask_b32_e32 v3, v31, v88, vcc
	v_cndmask_b32_e32 v31, v33, v89, vcc
	v_or_b32_e32 v35, 0x800000, v10
	v_add_u32_e32 v33, 20, v31
	v_cndmask_b32_e32 v10, v35, v10, vcc
	v_lshlrev_b64 v[40:41], v33, -1
	v_not_b32_e32 v33, v41
	v_not_b32_e32 v35, v40
	v_lshrrev_b64 v[44:45], v31, v[10:11]
	v_and_b32_e32 v41, 0, v33
	v_and_b32_e32 v40, v10, v35
	v_add_u32_e32 v33, 19, v31
	v_lshrrev_b32_e32 v10, 23, v44
	v_lshlrev_b64 v[42:43], v33, 1
	v_add3_u32 v31, v31, v3, v10
	v_bfe_u32 v3, v44, 20, 1
	v_add_u32_e32 v3, -1, v3
	v_cmp_eq_u64_e32 vcc, v[40:41], v[42:43]
	v_cndmask_b32_e32 v3, 0, v3, vcc
	v_add_u32_e32 v3, v3, v44
	v_and_b32_e32 v3, 0xfffff, v3
	v_add_co_u32_e32 v40, vcc, v3, v44
	v_add_u32_e32 v10, 6, v31
	v_addc_co_u32_e32 v41, vcc, 0, v45, vcc
	v_cmp_ne_u32_e32 vcc, 0, v10
                                        ; implicit-def: $vgpr3
	s_and_saveexec_b64 s[2:3], vcc
	s_xor_b64 s[2:3], exec, s[2:3]
; %bb.439:                              ;   in Loop: Header=BB18_339 Depth=2
	v_add_u32_e32 v3, 7, v31
	v_cmp_lt_u64_e32 vcc, s[66:67], v[40:41]
	v_cndmask_b32_e32 v3, v10, v3, vcc
	v_cndmask_b32_e64 v10, 0, 1, vcc
	v_lshrrev_b64 v[40:41], v10, v[40:41]
; %bb.440:                              ;   in Loop: Header=BB18_339 Depth=2
	s_andn2_saveexec_b64 s[2:3], s[2:3]
; %bb.441:                              ;   in Loop: Header=BB18_339 Depth=2
	v_bfe_u32 v3, v40, 23, 1
; %bb.442:                              ;   in Loop: Header=BB18_339 Depth=2
	s_or_b64 exec, exec, s[2:3]
	v_lshrrev_b64 v[40:41], 20, v[40:41]
	v_cmp_gt_i32_e32 vcc, 16, v3
	v_cndmask_b32_e32 v43, 0, v41, vcc
	v_cndmask_b32_e32 v42, 7, v40, vcc
	v_cmp_ne_u32_e32 vcc, 0, v3
	v_cmp_ne_u64_e64 s[2:3], 0, v[42:43]
	s_or_b64 s[2:3], vcc, s[2:3]
                                        ; implicit-def: $vgpr40_vgpr41
	s_and_saveexec_b64 s[14:15], s[2:3]
	s_xor_b64 s[2:3], exec, s[14:15]
; %bb.443:                              ;   in Loop: Header=BB18_339 Depth=2
	v_min_i32_e32 v3, 15, v3
	v_lshl_or_b32 v3, v3, 3, v4
	v_and_or_b32 v40, v42, 7, v3
                                        ; implicit-def: $vgpr4
; %bb.444:                              ;   in Loop: Header=BB18_339 Depth=2
	s_andn2_saveexec_b64 s[2:3], s[2:3]
; %bb.445:                              ;   in Loop: Header=BB18_339 Depth=2
	v_pk_mov_b32 v[40:41], v[4:5], v[4:5] op_sel:[0,1]
; %bb.446:                              ;   in Loop: Header=BB18_339 Depth=2
	s_or_b64 exec, exec, s[2:3]
.LBB18_447:                             ;   in Loop: Header=BB18_339 Depth=2
	s_or_b64 exec, exec, s[12:13]
.LBB18_448:                             ;   in Loop: Header=BB18_339 Depth=2
	s_andn2_saveexec_b64 s[2:3], s[10:11]
	s_or_b64 exec, exec, s[2:3]
                                        ; implicit-def: $vgpr3
.LBB18_449:                             ;   in Loop: Header=BB18_339 Depth=2
	s_andn2_saveexec_b64 s[2:3], s[8:9]
; %bb.450:                              ;   in Loop: Header=BB18_339 Depth=2
	v_or_b32_sdwa v3, v3, s40 dst_sel:DWORD dst_unused:UNUSED_PAD src0_sel:BYTE_3 src1_sel:DWORD
	v_cmp_eq_u64_e32 vcc, 0, v[10:11]
	v_cndmask_b32_e32 v40, v3, v40, vcc
; %bb.451:                              ;   in Loop: Header=BB18_339 Depth=2
	s_or_b64 exec, exec, s[2:3]
	v_cvt_f32_f16_sdwa v3, v5 dst_sel:DWORD dst_unused:UNUSED_PAD src0_sel:WORD_1
	v_mov_b32_e32 v45, v11
	v_div_scale_f32 v4, s[2:3], s33, s33, v3
	v_rcp_f32_e32 v5, v4
	v_div_scale_f32 v10, vcc, v3, s33, v3
	v_fma_f32 v31, -v4, v5, 1.0
	v_fmac_f32_e32 v5, v31, v5
	v_mul_f32_e32 v31, v10, v5
	v_fma_f32 v33, -v4, v31, v10
	v_fmac_f32_e32 v31, v33, v5
	v_fma_f32 v4, -v4, v31, v10
	v_div_fmas_f32 v4, v4, v5, v31
	v_div_fixup_f32 v3, v4, s33, v3
	v_cvt_f16_f32_e32 v3, v3
	v_cvt_f32_f16_e32 v3, v3
	v_and_b32_sdwa v4, v3, s58 dst_sel:DWORD dst_unused:UNUSED_PAD src0_sel:BYTE_3 src1_sel:DWORD
	v_and_b32_e32 v44, 0x7f800000, v3
	v_and_b32_e32 v10, 0x7fffff, v3
	v_or_b32_e32 v42, 0x7e, v4
	v_cmp_ne_u64_e32 vcc, s[62:63], v[44:45]
	s_and_saveexec_b64 s[2:3], vcc
	s_xor_b64 s[8:9], exec, s[2:3]
	s_cbranch_execz .LBB18_465
; %bb.452:                              ;   in Loop: Header=BB18_339 Depth=2
	v_and_b32_e32 v44, 0x7fffffff, v3
	v_mov_b32_e32 v45, v11
	v_cmp_gt_u64_e32 vcc, s[64:65], v[44:45]
	s_and_saveexec_b64 s[2:3], vcc
	s_xor_b64 s[10:11], exec, s[2:3]
	s_cbranch_execz .LBB18_464
; %bb.453:                              ;   in Loop: Header=BB18_339 Depth=2
	v_cmp_ne_u32_e32 vcc, 0, v3
	v_pk_mov_b32 v[42:43], 0, 0
	s_and_saveexec_b64 s[12:13], vcc
	s_cbranch_execz .LBB18_463
; %bb.454:                              ;   in Loop: Header=BB18_339 Depth=2
	v_bfe_u32 v3, v3, 23, 8
	v_sub_u32_e32 v31, 0x79, v3
	v_cmp_gt_u32_e32 vcc, s59, v3
	v_add_u32_e32 v5, 0xffffff81, v3
	v_cndmask_b32_e32 v31, 0, v31, vcc
	v_cmp_eq_u32_e32 vcc, 0, v3
	v_cndmask_b32_e32 v3, v5, v88, vcc
	v_cndmask_b32_e32 v5, v31, v89, vcc
	v_or_b32_e32 v33, 0x800000, v10
	v_add_u32_e32 v31, 20, v5
	v_cndmask_b32_e32 v10, v33, v10, vcc
	v_lshlrev_b64 v[42:43], v31, -1
	v_not_b32_e32 v31, v43
	v_not_b32_e32 v33, v42
	v_lshrrev_b64 v[52:53], v5, v[10:11]
	v_and_b32_e32 v43, 0, v31
	v_and_b32_e32 v42, v10, v33
	v_add_u32_e32 v31, 19, v5
	v_lshrrev_b32_e32 v10, 23, v52
	v_lshlrev_b64 v[44:45], v31, 1
	v_add3_u32 v10, v5, v3, v10
	v_bfe_u32 v3, v52, 20, 1
	v_add_u32_e32 v3, -1, v3
	v_cmp_eq_u64_e32 vcc, v[42:43], v[44:45]
	v_cndmask_b32_e32 v3, 0, v3, vcc
	v_add_u32_e32 v3, v3, v52
	v_and_b32_e32 v3, 0xfffff, v3
	v_add_co_u32_e32 v42, vcc, v3, v52
	v_add_u32_e32 v5, 6, v10
	v_addc_co_u32_e32 v43, vcc, 0, v53, vcc
	v_cmp_ne_u32_e32 vcc, 0, v5
                                        ; implicit-def: $vgpr3
	s_and_saveexec_b64 s[2:3], vcc
	s_xor_b64 s[2:3], exec, s[2:3]
; %bb.455:                              ;   in Loop: Header=BB18_339 Depth=2
	v_add_u32_e32 v3, 7, v10
	v_cmp_lt_u64_e32 vcc, s[66:67], v[42:43]
	v_cndmask_b32_e32 v3, v5, v3, vcc
	v_cndmask_b32_e64 v5, 0, 1, vcc
	v_lshrrev_b64 v[42:43], v5, v[42:43]
; %bb.456:                              ;   in Loop: Header=BB18_339 Depth=2
	s_andn2_saveexec_b64 s[2:3], s[2:3]
; %bb.457:                              ;   in Loop: Header=BB18_339 Depth=2
	v_bfe_u32 v3, v42, 23, 1
; %bb.458:                              ;   in Loop: Header=BB18_339 Depth=2
	s_or_b64 exec, exec, s[2:3]
	v_lshrrev_b64 v[42:43], 20, v[42:43]
	v_cmp_gt_i32_e32 vcc, 16, v3
	v_cndmask_b32_e32 v45, 0, v43, vcc
	v_cndmask_b32_e32 v44, 7, v42, vcc
	v_cmp_ne_u32_e32 vcc, 0, v3
	v_cmp_ne_u64_e64 s[2:3], 0, v[44:45]
	s_or_b64 s[2:3], vcc, s[2:3]
                                        ; implicit-def: $vgpr42_vgpr43
	s_and_saveexec_b64 s[14:15], s[2:3]
	s_xor_b64 s[2:3], exec, s[14:15]
; %bb.459:                              ;   in Loop: Header=BB18_339 Depth=2
	v_min_i32_e32 v3, 15, v3
	v_lshl_or_b32 v3, v3, 3, v4
	v_and_or_b32 v42, v44, 7, v3
                                        ; implicit-def: $vgpr4
; %bb.460:                              ;   in Loop: Header=BB18_339 Depth=2
	s_andn2_saveexec_b64 s[2:3], s[2:3]
; %bb.461:                              ;   in Loop: Header=BB18_339 Depth=2
	v_pk_mov_b32 v[42:43], v[4:5], v[4:5] op_sel:[0,1]
; %bb.462:                              ;   in Loop: Header=BB18_339 Depth=2
	s_or_b64 exec, exec, s[2:3]
.LBB18_463:                             ;   in Loop: Header=BB18_339 Depth=2
	s_or_b64 exec, exec, s[12:13]
.LBB18_464:                             ;   in Loop: Header=BB18_339 Depth=2
	s_andn2_saveexec_b64 s[2:3], s[10:11]
	s_or_b64 exec, exec, s[2:3]
                                        ; implicit-def: $vgpr3
.LBB18_465:                             ;   in Loop: Header=BB18_339 Depth=2
	s_andn2_saveexec_b64 s[2:3], s[8:9]
	s_cbranch_execz .LBB18_338
; %bb.466:                              ;   in Loop: Header=BB18_339 Depth=2
	v_or_b32_sdwa v3, v3, s40 dst_sel:DWORD dst_unused:UNUSED_PAD src0_sel:BYTE_3 src1_sel:DWORD
	v_cmp_eq_u64_e32 vcc, 0, v[10:11]
	v_cndmask_b32_e32 v42, v3, v42, vcc
	s_branch .LBB18_338
.LBB18_467:                             ;   in Loop: Header=BB18_9 Depth=1
	s_or_b64 exec, exec, s[4:5]
	v_lshlrev_b32_e32 v3, 3, v50
	v_add_u32_e32 v2, v3, v8
	v_cmp_lt_i32_e32 vcc, v2, v15
	s_and_saveexec_b64 s[72:73], vcc
	s_cbranch_execz .LBB18_491
; %bb.468:                              ;   in Loop: Header=BB18_9 Depth=1
	v_add_u32_e32 v4, v82, v3
	v_max_i32_e32 v4, v4, v15
	v_add_u32_e32 v4, v4, v21
	v_sub_u32_e32 v3, v4, v3
	v_cmp_lt_u32_e32 vcc, s21, v3
	s_mov_b64 s[2:3], -1
	s_and_saveexec_b64 s[74:75], vcc
	s_cbranch_execz .LBB18_472
; %bb.469:                              ;   in Loop: Header=BB18_9 Depth=1
	v_lshrrev_b32_e32 v3, 5, v3
	v_add_co_u32_e32 v91, vcc, v46, v26
	v_add_u32_e32 v90, 1, v3
	v_addc_co_u32_e32 v93, vcc, v47, v27, vcc
	v_add_u32_e32 v5, 0x60, v2
	v_add_u32_e32 v4, 64, v2
	v_add_co_u32_e32 v94, vcc, v48, v24
	v_and_b32_e32 v92, 0xffffffc, v90
	v_add_u32_e32 v3, 32, v2
	v_pk_mov_b32 v[6:7], v[4:5], v[4:5] op_sel:[0,1]
	v_addc_co_u32_e32 v95, vcc, v49, v25, vcc
	s_mov_b64 s[76:77], 0
	v_mov_b32_e32 v96, v92
	v_pk_mov_b32 v[4:5], v[2:3], v[2:3] op_sel:[0,1]
.LBB18_470:                             ;   Parent Loop BB18_9 Depth=1
                                        ; =>  This Inner Loop Header: Depth=2
	v_ashrrev_i32_e32 v53, 31, v7
	v_ashrrev_i32_e32 v57, 31, v6
	;; [unrolled: 1-line block ×4, first 2 shown]
	v_mov_b32_e32 v66, v4
	v_add_co_u32_e32 v28, vcc, v94, v5
	v_add_co_u32_e64 v30, s[2:3], v94, v6
	v_add_co_u32_e64 v32, s[4:5], v94, v7
	;; [unrolled: 1-line block ×3, first 2 shown]
	v_addc_co_u32_e64 v43, s[6:7], v95, v67, s[6:7]
	v_addc_co_u32_e32 v29, vcc, v95, v63, vcc
	v_addc_co_u32_e64 v31, vcc, v95, v57, s[2:3]
	v_addc_co_u32_e64 v33, vcc, v95, v53, s[4:5]
	v_lshlrev_b64 v[66:67], 1, v[66:67]
	v_mov_b32_e32 v62, v5
	v_add_co_u32_e32 v66, vcc, v91, v66
	v_lshlrev_b64 v[62:63], 1, v[62:63]
	v_addc_co_u32_e32 v67, vcc, v93, v67, vcc
	v_mov_b32_e32 v56, v6
	v_add_co_u32_e32 v62, vcc, v91, v62
	v_lshlrev_b64 v[56:57], 1, v[56:57]
	v_addc_co_u32_e32 v63, vcc, v93, v63, vcc
	;; [unrolled: 4-line block ×3, first 2 shown]
	v_add_co_u32_e32 v52, vcc, v91, v52
	v_addc_co_u32_e32 v53, vcc, v93, v53, vcc
	global_load_ushort v3, v[66:67], off
	global_load_ushort v10, v[52:53], off
	;; [unrolled: 1-line block ×4, first 2 shown]
	v_mov_b32_e32 v75, v11
	v_mov_b32_e32 v79, v11
	;; [unrolled: 1-line block ×19, first 2 shown]
	v_add_u32_e32 v96, -4, v96
	v_cmp_eq_u32_e64 s[2:3], 0, v96
	v_add_u32_e32 v7, 0x80, v7
	v_add_u32_e32 v6, 0x80, v6
	v_add_u32_e32 v5, 0x80, v5
	v_add_u32_e32 v4, 0x80, v4
	s_waitcnt vmcnt(3)
	v_cvt_f32_f16_e32 v3, v3
	s_waitcnt vmcnt(2)
	v_cvt_f32_f16_e32 v10, v10
	;; [unrolled: 2-line block ×4, first 2 shown]
	v_div_scale_f32 v52, s[8:9], s33, s33, v3
	v_div_scale_f32 v38, s[4:5], s87, s87, v10
	;; [unrolled: 1-line block ×3, first 2 shown]
	v_rcp_f32_e32 v54, v38
	v_rcp_f32_e32 v56, v44
	v_div_scale_f32 v48, s[6:7], s48, s48, v34
	v_rcp_f32_e32 v57, v48
	v_rcp_f32_e32 v58, v52
	v_fma_f32 v60, -v38, v54, 1.0
	v_div_scale_f32 v40, vcc, v10, s87, v10
	v_fma_f32 v62, -v44, v56, 1.0
	v_fmac_f32_e32 v54, v60, v54
	v_div_scale_f32 v46, s[4:5], v36, s49, v36
	v_fmac_f32_e32 v56, v62, v56
	v_mul_f32_e32 v60, v40, v54
	v_fma_f32 v63, -v48, v57, 1.0
	v_mul_f32_e32 v62, v46, v56
	v_fma_f32 v66, -v38, v60, v40
	v_div_scale_f32 v50, s[6:7], v34, s48, v34
	v_fma_f32 v64, -v52, v58, 1.0
	v_fmac_f32_e32 v57, v63, v57
	v_fma_f32 v67, -v44, v62, v46
	v_fmac_f32_e32 v60, v66, v54
	v_div_scale_f32 v53, s[8:9], v3, s33, v3
	v_fmac_f32_e32 v58, v64, v58
	v_mul_f32_e32 v63, v50, v57
	v_fmac_f32_e32 v62, v67, v56
	v_fma_f32 v38, -v38, v60, v40
	v_mul_f32_e32 v64, v53, v58
	v_fma_f32 v68, -v48, v63, v50
	v_fma_f32 v40, -v44, v62, v46
	v_div_fmas_f32 v38, v38, v54, v60
	s_mov_b64 vcc, s[4:5]
	v_fma_f32 v70, -v52, v64, v53
	v_fmac_f32_e32 v63, v68, v57
	v_div_fixup_f32 v10, v38, s87, v10
	v_div_fmas_f32 v38, v40, v56, v62
	v_fmac_f32_e32 v64, v70, v58
	v_fma_f32 v44, -v48, v63, v50
	v_div_fixup_f32 v36, v38, s49, v36
	s_mov_b64 vcc, s[6:7]
	v_fma_f32 v46, -v52, v64, v53
	v_div_fmas_f32 v38, v44, v57, v63
	v_cvt_f16_f32_e32 v10, v10
	s_mov_b64 vcc, s[8:9]
	v_cvt_f16_f32_e32 v36, v36
	v_div_fixup_f32 v34, v38, s48, v34
	v_div_fmas_f32 v38, v46, v58, v64
	v_div_fixup_f32 v3, v38, s33, v3
	v_cvt_f16_f32_e32 v34, v34
	v_cvt_f16_f32_e32 v3, v3
	v_cvt_f32_f16_e32 v10, v10
	v_cvt_f32_f16_e32 v36, v36
	;; [unrolled: 1-line block ×4, first 2 shown]
	v_bfe_u32 v40, v10, 23, 8
	v_and_b32_e32 v78, 0x7f800000, v10
	v_and_b32_e32 v80, 0x7fffffff, v10
	;; [unrolled: 1-line block ×5, first 2 shown]
	v_and_b32_sdwa v3, v10, s58 dst_sel:DWORD dst_unused:UNUSED_PAD src0_sel:BYTE_3 src1_sel:DWORD
	v_cmp_eq_u32_e32 vcc, 0, v10
	v_cmp_ne_u32_e64 s[4:5], 0, v10
	v_or_b32_sdwa v44, v10, s40 dst_sel:DWORD dst_unused:UNUSED_PAD src0_sel:BYTE_3 src1_sel:DWORD
	v_and_b32_e32 v46, 0x7fffff, v36
	v_bfe_u32 v10, v36, 23, 8
	v_cmp_ne_u64_e64 s[6:7], s[62:63], v[78:79]
	v_cmp_lt_u64_e64 s[8:9], s[68:69], v[80:81]
	v_cmp_gt_u64_e64 s[10:11], s[64:65], v[80:81]
	v_sub_u32_e32 v52, 0x79, v40
	v_cmp_gt_u32_e64 s[20:21], s59, v40
	v_cmp_ne_u64_e64 s[22:23], s[62:63], v[74:75]
	v_cmp_lt_u64_e64 s[24:25], s[68:69], v[76:77]
	v_and_b32_sdwa v56, v36, s58 dst_sel:DWORD dst_unused:UNUSED_PAD src0_sel:BYTE_3 src1_sel:DWORD
	v_add_u32_e32 v48, 0xffffff81, v40
	v_cmp_eq_u32_e64 s[16:17], 0, v40
	v_or_b32_e32 v53, 0x800000, v64
	v_cmp_eq_u64_e64 s[18:19], 0, v[64:65]
	v_bfe_u32 v40, v34, 23, 8
	v_and_b32_e32 v70, 0x7f800000, v34
	v_and_b32_e32 v72, 0x7fffffff, v34
	v_cmp_gt_u64_e64 s[26:27], s[64:65], v[76:77]
	s_and_b64 s[44:45], s[6:7], s[10:11]
	v_sub_u32_e32 v65, 0x79, v10
	v_cndmask_b32_e64 v52, 0, v52, s[20:21]
	s_and_b64 s[46:47], s[6:7], s[8:9]
	v_cmp_eq_u64_e64 s[6:7], 0, v[46:47]
	v_cmp_gt_u32_e64 s[8:9], s59, v10
	s_and_b64 s[92:93], s[22:23], s[24:25]
	v_or_b32_e32 v50, 0x7e, v3
	v_cmp_eq_u32_e64 s[12:13], 0, v36
	v_cmp_ne_u32_e64 s[14:15], 0, v36
	v_or_b32_sdwa v58, v36, s40 dst_sel:DWORD dst_unused:UNUSED_PAD src0_sel:BYTE_3 src1_sel:DWORD
	v_and_b32_e32 v36, 0x7fffff, v34
	v_and_b32_sdwa v57, v34, s58 dst_sel:DWORD dst_unused:UNUSED_PAD src0_sel:BYTE_3 src1_sel:DWORD
	v_or_b32_e32 v63, 0x7e, v56
	v_cmp_eq_u32_e64 s[10:11], 0, v34
	v_cmp_ne_u32_e64 s[28:29], 0, v34
	v_add_u32_e32 v54, 0xffffff81, v10
	v_cmp_eq_u32_e64 s[30:31], 0, v10
	v_or_b32_e32 v66, 0x800000, v46
	v_cndmask_b32_e64 v74, v48, v88, s[16:17]
	v_cndmask_b32_e64 v68, v53, v64, s[16:17]
	v_or_b32_sdwa v53, v34, s40 dst_sel:DWORD dst_unused:UNUSED_PAD src0_sel:BYTE_3 src1_sel:DWORD
	v_bfe_u32 v34, v38, 23, 8
	v_and_b32_e32 v48, 0x7f800000, v38
	v_cmp_ne_u64_e64 s[20:21], s[62:63], v[70:71]
	v_and_b32_e32 v60, 0x7fffffff, v38
	v_cmp_lt_u64_e64 s[34:35], s[68:69], v[72:73]
	s_and_b64 s[82:83], s[22:23], s[26:27]
	s_and_b64 s[78:79], s[44:45], s[4:5]
	v_add_u32_e32 v47, 0xffffff81, v40
	v_cmp_eq_u32_e64 s[4:5], 0, v40
	v_sub_u32_e32 v64, 0x79, v40
	v_cndmask_b32_e64 v65, 0, v65, s[8:9]
	v_cndmask_b32_e64 v71, v52, v89, s[16:17]
	s_or_b64 s[16:17], s[46:47], s[18:19]
	s_and_b64 s[44:45], s[44:45], vcc
	v_cmp_gt_u32_e32 vcc, s59, v40
	s_or_b64 s[6:7], s[92:93], s[6:7]
	v_and_b32_e32 v10, 0x7fffff, v38
	v_cmp_gt_u64_e64 s[36:37], s[64:65], v[72:73]
	v_or_b32_e32 v70, 0x800000, v36
	v_cndmask_b32_e64 v72, v54, v88, s[30:31]
	v_cndmask_b32_e64 v54, v66, v46, s[30:31]
	v_cmp_eq_u64_e64 s[8:9], 0, v[36:37]
	v_cndmask_b32_e64 v46, v44, v50, s[16:17]
	v_cmp_ne_u64_e64 s[16:17], s[62:63], v[48:49]
	v_cmp_lt_u64_e64 s[18:19], s[68:69], v[60:61]
	v_cmp_gt_u64_e64 s[22:23], s[64:65], v[60:61]
	s_and_b64 s[24:25], s[82:83], s[14:15]
	v_add_u32_e32 v48, 0xffffff81, v34
	v_cmp_eq_u32_e64 s[14:15], 0, v34
	v_sub_u32_e32 v49, 0x79, v34
	v_cndmask_b32_e32 v50, 0, v64, vcc
	v_cndmask_b32_e64 v61, v47, v88, s[4:5]
	v_cndmask_b32_e64 v73, v65, v89, s[30:31]
	v_add_u32_e32 v47, 20, v71
	s_and_b64 s[30:31], s[20:21], s[34:35]
	v_cndmask_b32_e64 v58, v58, v63, s[6:7]
	v_cmp_gt_u32_e64 s[6:7], s59, v34
	v_or_b32_e32 v67, 0x7e, v57
	s_and_b64 s[36:37], s[20:21], s[36:37]
	v_or_b32_e32 v52, 0x800000, v10
	v_cndmask_b32_e64 v44, v70, v36, s[4:5]
	v_lshrrev_b64 v[36:37], v71, v[68:69]
	s_and_b64 s[12:13], s[82:83], s[12:13]
	v_cndmask_b32_e64 v63, 0, v49, s[6:7]
	v_cndmask_b32_e64 v75, v48, v88, s[14:15]
	;; [unrolled: 1-line block ×3, first 2 shown]
	v_lshlrev_b64 v[48:49], v47, -1
	s_or_b64 s[4:5], s[30:31], s[8:9]
	v_and_b32_sdwa v62, v38, s58 dst_sel:DWORD dst_unused:UNUSED_PAD src0_sel:BYTE_3 src1_sel:DWORD
	v_cmp_eq_u64_e32 vcc, 0, v[10:11]
	v_cndmask_b32_e64 v60, v46, 0, s[44:45]
	v_cndmask_b32_e64 v34, v52, v10, s[14:15]
	v_add_u32_e32 v50, 20, v73
	v_add_u32_e32 v49, 19, v73
	v_lshrrev_b64 v[46:47], v73, v[54:55]
	v_lshrrev_b32_e32 v55, 23, v36
	s_and_b64 s[6:7], s[16:17], s[18:19]
	v_cndmask_b32_e64 v70, v53, v67, s[4:5]
	s_and_b64 s[4:5], s[36:37], s[10:11]
	v_cndmask_b32_e64 v10, v58, 0, s[12:13]
	v_add_u32_e32 v58, 20, v76
	v_cmp_eq_u32_e64 s[26:27], 0, v38
	v_cmp_ne_u32_e64 s[38:39], 0, v38
	v_or_b32_sdwa v38, v38, s40 dst_sel:DWORD dst_unused:UNUSED_PAD src0_sel:BYTE_3 src1_sel:DWORD
	v_or_b32_e32 v40, 0x7e, v62
	v_add_u32_e32 v64, 19, v71
	s_and_b64 s[22:23], s[16:17], s[22:23]
	v_cndmask_b32_e64 v63, v63, v89, s[14:15]
	v_lshlrev_b64 v[52:53], v50, -1
	v_not_b32_e32 v50, v48
	v_lshlrev_b64 v[66:67], v49, 1
	v_lshrrev_b64 v[48:49], v76, v[44:45]
	v_add3_u32 v55, v71, v74, v55
	s_or_b64 vcc, s[6:7], vcc
	v_cndmask_b32_e64 v45, v70, 0, s[4:5]
	v_lshlrev_b64 v[70:71], v58, -1
	v_lshlrev_b64 v[64:65], v64, 1
	v_bfe_u32 v69, v36, 20, 1
	v_add_u32_e32 v53, 19, v76
	v_lshrrev_b32_e32 v77, 23, v46
	v_cndmask_b32_e32 v38, v38, v40, vcc
	s_and_b64 s[4:5], s[22:23], s[26:27]
	v_add_u32_e32 v40, 20, v63
	v_not_b32_e32 v71, v52
	v_and_b32_e32 v58, v68, v50
	v_bfe_u32 v74, v46, 20, 1
	v_add_u32_e32 v78, -1, v69
	v_lshlrev_b64 v[68:69], v53, 1
	v_lshrrev_b64 v[52:53], v63, v[34:35]
	v_add3_u32 v77, v73, v72, v77
	v_cndmask_b32_e64 v35, v38, 0, s[4:5]
	v_lshlrev_b64 v[72:73], v40, -1
	v_and_b32_e32 v50, v54, v71
	v_cmp_eq_u64_e64 s[4:5], v[58:59], v[64:65]
	v_add_u32_e32 v79, 19, v63
	v_add_u32_e32 v74, -1, v74
	v_not_b32_e32 v38, v70
	v_cndmask_b32_e64 v58, 0, v78, s[4:5]
	v_not_b32_e32 v59, v72
	v_cmp_eq_u64_e64 s[6:7], v[50:51], v[66:67]
	v_lshrrev_b32_e32 v80, 23, v48
	v_add_u32_e32 v81, 6, v55
	v_bfe_u32 v97, v48, 20, 1
	v_add_u32_e32 v98, 7, v55
	v_lshlrev_b64 v[54:55], v79, 1
	v_bfe_u32 v73, v52, 20, 1
	v_and_b32_e32 v40, v44, v38
	v_cndmask_b32_e64 v50, 0, v74, s[6:7]
	v_add_u32_e32 v51, v58, v36
	v_and_b32_e32 v38, v34, v59
	v_add3_u32 v61, v76, v61, v80
	v_add_u32_e32 v76, -1, v97
	v_add_u32_e32 v64, -1, v73
	v_cmp_eq_u64_e64 s[6:7], v[40:41], v[68:69]
	v_add_u32_e32 v41, v50, v46
	v_and_b32_e32 v50, 0xfffff, v51
	v_cmp_eq_u64_e64 s[10:11], v[38:39], v[54:55]
	v_cndmask_b32_e64 v40, 0, v76, s[6:7]
	v_cndmask_b32_e64 v38, 0, v64, s[10:11]
	v_add_co_u32_e64 v36, s[10:11], v50, v36
	v_cmp_ne_u32_e32 vcc, 0, v81
	v_add_u32_e32 v39, v40, v48
	v_and_b32_e32 v40, 0xfffff, v41
	v_addc_co_u32_e64 v37, s[10:11], 0, v37, s[10:11]
	v_cmp_lt_u64_e64 s[10:11], s[66:67], v[36:37]
	s_and_b64 vcc, s[78:79], vcc
	v_add_u32_e32 v41, v38, v52
	v_and_b32_e32 v54, 0xfffff, v39
	v_add_co_u32_e64 v38, s[12:13], v40, v46
	v_lshrrev_b32_e32 v70, 23, v52
	v_add_u32_e32 v71, 6, v77
	v_cndmask_b32_e64 v51, v81, v98, s[10:11]
	v_addc_co_u32_e64 v39, s[12:13], 0, v47, s[12:13]
	v_and_b32_e32 v46, 0xfffff, v41
	v_add_co_u32_e64 v40, s[14:15], v54, v48
	s_and_b64 s[10:11], vcc, s[10:11]
	v_add_u32_e32 v77, 7, v77
	v_add3_u32 v44, v63, v75, v70
	v_add_u32_e32 v63, 6, v61
	v_cmp_ne_u32_e64 s[4:5], 0, v71
	v_bfe_u32 v50, v36, 23, 1
	v_cmp_lt_u64_e64 s[12:13], s[66:67], v[38:39]
	v_addc_co_u32_e64 v41, s[14:15], 0, v49, s[14:15]
	v_cndmask_b32_e64 v49, 0, 1, s[10:11]
	v_add_co_u32_e64 v46, s[10:11], v46, v52
	s_and_b64 s[20:21], s[36:37], s[28:29]
	v_add_u32_e32 v61, 7, v61
	v_add_u32_e32 v34, 6, v44
	v_cmp_ne_u32_e64 s[8:9], 0, v63
	v_bfe_u32 v55, v38, 23, 1
	v_cndmask_b32_e64 v58, v71, v77, s[12:13]
	s_and_b64 s[4:5], s[24:25], s[4:5]
	v_cndmask_b32_e32 v48, v50, v51, vcc
	v_cmp_lt_u64_e32 vcc, s[66:67], v[40:41]
	v_addc_co_u32_e64 v47, s[10:11], 0, v53, s[10:11]
	s_and_b64 s[16:17], s[22:23], s[38:39]
	v_add_u32_e32 v44, 7, v44
	v_cmp_ne_u32_e64 s[6:7], 0, v34
	v_bfe_u32 v50, v40, 23, 1
	v_cndmask_b32_e32 v51, v63, v61, vcc
	s_and_b64 s[8:9], s[20:21], s[8:9]
	v_cndmask_b32_e64 v52, v55, v58, s[4:5]
	s_and_b64 s[4:5], s[4:5], s[12:13]
	v_cmp_lt_u64_e64 s[12:13], s[66:67], v[46:47]
	v_cndmask_b32_e64 v53, 0, 1, s[4:5]
	v_lshrrev_b64 v[36:37], v49, v[36:37]
	v_bfe_u32 v54, v46, 23, 1
	v_cndmask_b32_e64 v34, v34, v44, s[12:13]
	v_cndmask_b32_e64 v44, v50, v51, s[8:9]
	s_and_b64 s[8:9], s[8:9], vcc
	s_and_b64 s[6:7], s[16:17], s[6:7]
	v_cmp_eq_u32_e64 s[4:5], 0, v48
	v_min_i32_e32 v49, 15, v48
	v_lshrrev_b64 v[36:37], 20, v[36:37]
	v_cmp_gt_i32_e64 s[10:11], 16, v48
	v_cndmask_b32_e64 v48, 0, 1, s[8:9]
	v_lshrrev_b64 v[38:39], v53, v[38:39]
	v_cndmask_b32_e64 v34, v54, v34, s[6:7]
	s_and_b64 s[6:7], s[6:7], s[12:13]
	v_cndmask_b32_e64 v51, 0, 1, s[6:7]
	v_lshrrev_b64 v[40:41], v48, v[40:41]
	v_lshrrev_b64 v[38:39], 20, v[38:39]
	v_cndmask_b32_e64 v37, 0, v37, s[10:11]
	v_cndmask_b32_e64 v36, 7, v36, s[10:11]
	v_cmp_gt_i32_e64 s[8:9], 16, v52
	v_lshl_or_b32 v49, v49, 3, v3
	v_lshrrev_b64 v[46:47], v51, v[46:47]
	v_lshrrev_b64 v[40:41], 20, v[40:41]
	v_cndmask_b32_e64 v39, 0, v39, s[8:9]
	v_cndmask_b32_e64 v38, 7, v38, s[8:9]
	v_cmp_eq_u64_e64 s[10:11], 0, v[36:37]
	v_cmp_gt_i32_e64 s[12:13], 16, v44
	v_cmp_eq_u32_e32 vcc, 0, v52
	v_and_or_b32 v49, v36, 7, v49
	v_lshrrev_b64 v[36:37], 20, v[46:47]
	v_cndmask_b32_e64 v41, 0, v41, s[12:13]
	v_cndmask_b32_e64 v40, 7, v40, s[12:13]
	v_cmp_eq_u64_e64 s[12:13], 0, v[38:39]
	s_and_b64 s[10:11], s[4:5], s[10:11]
	v_cmp_gt_i32_e64 s[4:5], 16, v34
	v_cmp_eq_u32_e64 s[6:7], 0, v44
	v_cndmask_b32_e64 v37, 0, v37, s[4:5]
	v_cndmask_b32_e64 v36, 7, v36, s[4:5]
	v_cmp_eq_u64_e64 s[4:5], 0, v[40:41]
	s_and_b64 s[12:13], vcc, s[12:13]
	s_xor_b64 s[14:15], s[10:11], -1
	s_and_b64 vcc, s[78:79], s[10:11]
	s_and_b64 s[6:7], s[6:7], s[4:5]
	s_and_b64 s[4:5], s[24:25], s[12:13]
	v_min_i32_e32 v50, 15, v52
	v_cmp_eq_u32_e64 s[8:9], 0, v34
	v_cndmask_b32_e32 v3, v60, v3, vcc
	v_cmp_eq_u64_e32 vcc, 0, v[36:37]
	v_cndmask_b32_e64 v10, v10, v56, s[4:5]
	s_and_b64 s[4:5], s[78:79], s[14:15]
	v_lshl_or_b32 v50, v50, 3, v56
	s_xor_b64 s[10:11], s[12:13], -1
	v_cndmask_b32_e64 v3, v3, v49, s[4:5]
	s_and_b64 s[4:5], s[8:9], vcc
	s_and_b64 vcc, s[20:21], s[6:7]
	v_min_i32_e32 v48, 15, v44
	v_and_or_b32 v38, v38, 7, v50
	v_cndmask_b32_e32 v37, v45, v57, vcc
	s_and_b64 vcc, s[24:25], s[10:11]
	v_lshl_or_b32 v48, v48, 3, v57
	s_xor_b64 s[8:9], s[6:7], -1
	v_cndmask_b32_e32 v10, v10, v38, vcc
	s_and_b64 vcc, s[16:17], s[4:5]
	v_min_i32_e32 v51, 15, v34
	v_and_or_b32 v34, v40, 7, v48
	v_lshlrev_b16_e32 v3, 8, v3
	v_cndmask_b32_e32 v35, v35, v62, vcc
	s_and_b64 vcc, s[20:21], s[8:9]
	v_lshl_or_b32 v39, v51, 3, v62
	s_xor_b64 s[6:7], s[4:5], -1
	v_or_b32_sdwa v3, v10, v3 dst_sel:DWORD dst_unused:UNUSED_PAD src0_sel:BYTE_0 src1_sel:DWORD
	v_cndmask_b32_e32 v10, v37, v34, vcc
	v_and_or_b32 v36, v36, 7, v39
	v_lshlrev_b16_e32 v10, 8, v10
	s_and_b64 vcc, s[16:17], s[6:7]
	v_cndmask_b32_e32 v34, v35, v36, vcc
	s_or_b64 s[76:77], s[2:3], s[76:77]
	v_lshrrev_b32_e32 v10, 8, v10
	v_lshrrev_b32_e32 v35, 8, v3
	global_store_byte v[42:43], v34, off
	global_store_byte v[28:29], v10, off
	;; [unrolled: 1-line block ×4, first 2 shown]
	s_andn2_b64 exec, exec, s[76:77]
	s_cbranch_execnz .LBB18_470
; %bb.471:                              ;   in Loop: Header=BB18_9 Depth=1
	s_or_b64 exec, exec, s[76:77]
	v_cmp_ne_u32_e32 vcc, v90, v92
	v_lshl_add_u32 v2, v92, 5, v2
	s_orn2_b64 s[2:3], vcc, exec
	v_readlane_b32 s92, v99, 25
	v_readlane_b32 s93, v99, 26
	s_mul_i32 s20, s57, s84
	s_movk_i32 s21, 0x5f
.LBB18_472:                             ;   in Loop: Header=BB18_9 Depth=1
	s_or_b64 exec, exec, s[74:75]
	s_and_b64 exec, exec, s[2:3]
	s_cbranch_execz .LBB18_491
; %bb.473:                              ;   in Loop: Header=BB18_9 Depth=1
	v_ashrrev_i32_e32 v3, 31, v2
	v_lshlrev_b64 v[4:5], 1, v[2:3]
	v_add_co_u32_e32 v4, vcc, v26, v4
	v_addc_co_u32_e32 v5, vcc, v27, v5, vcc
	v_add_co_u32_e32 v4, vcc, v4, v22
	v_readlane_b32 s2, v99, 23
	v_addc_co_u32_e32 v5, vcc, v5, v23, vcc
	v_mov_b32_e32 v6, s2
	v_readlane_b32 s2, v99, 24
	v_add_co_u32_e32 v4, vcc, s2, v4
	v_addc_co_u32_e32 v5, vcc, v6, v5, vcc
	v_add_co_u32_e32 v6, vcc, v24, v2
	v_addc_co_u32_e32 v3, vcc, v25, v3, vcc
	;; [unrolled: 2-line block ×3, first 2 shown]
	s_mov_b64 s[4:5], 0
	s_branch .LBB18_475
.LBB18_474:                             ;   in Loop: Header=BB18_475 Depth=2
	s_or_b64 exec, exec, s[2:3]
	v_add_co_u32_e32 v4, vcc, 64, v4
	v_add_u32_e32 v2, 32, v2
	v_addc_co_u32_e32 v5, vcc, 0, v5, vcc
	v_cmp_ge_i32_e32 vcc, v2, v15
	global_store_byte v[6:7], v23, off
	s_or_b64 s[4:5], vcc, s[4:5]
	v_add_co_u32_e32 v6, vcc, 32, v6
	v_addc_co_u32_e32 v7, vcc, 0, v7, vcc
	s_andn2_b64 exec, exec, s[4:5]
	s_cbranch_execz .LBB18_491
.LBB18_475:                             ;   Parent Loop BB18_9 Depth=1
                                        ; =>  This Inner Loop Header: Depth=2
	global_load_ushort v3, v[4:5], off
	s_waitcnt vmcnt(0)
	v_cvt_f32_f16_e32 v3, v3
	v_div_scale_f32 v10, s[2:3], s33, s33, v3
	v_rcp_f32_e32 v22, v10
	v_div_scale_f32 v23, vcc, v3, s33, v3
	v_fma_f32 v24, -v10, v22, 1.0
	v_fmac_f32_e32 v22, v24, v22
	v_mul_f32_e32 v24, v23, v22
	v_fma_f32 v25, -v10, v24, v23
	v_fmac_f32_e32 v24, v25, v22
	v_fma_f32 v10, -v10, v24, v23
	v_div_fmas_f32 v10, v10, v22, v24
	v_div_fixup_f32 v3, v10, s33, v3
	v_cvt_f16_f32_e32 v3, v3
	v_mov_b32_e32 v25, v11
	v_cvt_f32_f16_e32 v22, v3
	v_and_b32_sdwa v3, v22, s58 dst_sel:DWORD dst_unused:UNUSED_PAD src0_sel:BYTE_3 src1_sel:DWORD
	v_and_b32_e32 v24, 0x7f800000, v22
	v_and_b32_e32 v10, 0x7fffff, v22
	v_or_b32_e32 v23, 0x7e, v3
	v_cmp_ne_u64_e32 vcc, s[62:63], v[24:25]
	s_and_saveexec_b64 s[2:3], vcc
	s_xor_b64 s[6:7], exec, s[2:3]
	s_cbranch_execz .LBB18_489
; %bb.476:                              ;   in Loop: Header=BB18_475 Depth=2
	v_and_b32_e32 v24, 0x7fffffff, v22
	v_mov_b32_e32 v25, v11
	v_cmp_gt_u64_e32 vcc, s[64:65], v[24:25]
	s_and_saveexec_b64 s[2:3], vcc
	s_xor_b64 s[8:9], exec, s[2:3]
	s_cbranch_execz .LBB18_488
; %bb.477:                              ;   in Loop: Header=BB18_475 Depth=2
	v_cmp_ne_u32_e32 vcc, 0, v22
	v_mov_b32_e32 v23, 0
	s_and_saveexec_b64 s[10:11], vcc
	s_cbranch_execz .LBB18_487
; %bb.478:                              ;   in Loop: Header=BB18_475 Depth=2
	v_bfe_u32 v22, v22, 23, 8
	v_sub_u32_e32 v24, 0x79, v22
	v_cmp_gt_u32_e32 vcc, s59, v22
	v_cndmask_b32_e32 v24, 0, v24, vcc
	v_cmp_eq_u32_e32 vcc, 0, v22
	v_cndmask_b32_e32 v24, v24, v89, vcc
	v_add_u32_e32 v23, 0xffffff81, v22
	v_or_b32_e32 v25, 0x800000, v10
	v_add_u32_e32 v22, 20, v24
	v_cndmask_b32_e32 v30, v23, v88, vcc
	v_cndmask_b32_e32 v10, v25, v10, vcc
	v_lshlrev_b64 v[22:23], v22, -1
	v_not_b32_e32 v22, v22
	v_lshrrev_b64 v[28:29], v24, v[10:11]
	v_not_b32_e32 v23, v23
	v_and_b32_e32 v22, v10, v22
	v_add_u32_e32 v25, 19, v24
	v_lshrrev_b32_e32 v10, 23, v28
	v_and_b32_e32 v23, 0, v23
	v_lshlrev_b64 v[26:27], v25, 1
	v_add3_u32 v25, v24, v30, v10
	v_bfe_u32 v10, v28, 20, 1
	v_add_u32_e32 v10, -1, v10
	v_cmp_eq_u64_e32 vcc, v[22:23], v[26:27]
	v_cndmask_b32_e32 v10, 0, v10, vcc
	v_add_u32_e32 v10, v10, v28
	v_and_b32_e32 v10, 0xfffff, v10
	v_add_co_u32_e32 v22, vcc, v10, v28
	v_add_u32_e32 v24, 6, v25
	v_addc_co_u32_e32 v23, vcc, 0, v29, vcc
	v_cmp_ne_u32_e32 vcc, 0, v24
                                        ; implicit-def: $vgpr10
	s_and_saveexec_b64 s[2:3], vcc
	s_xor_b64 s[2:3], exec, s[2:3]
; %bb.479:                              ;   in Loop: Header=BB18_475 Depth=2
	v_add_u32_e32 v10, 7, v25
	v_cmp_lt_u64_e32 vcc, s[66:67], v[22:23]
	v_cndmask_b32_e32 v10, v24, v10, vcc
	v_cndmask_b32_e64 v24, 0, 1, vcc
	v_lshrrev_b64 v[22:23], v24, v[22:23]
; %bb.480:                              ;   in Loop: Header=BB18_475 Depth=2
	s_andn2_saveexec_b64 s[2:3], s[2:3]
; %bb.481:                              ;   in Loop: Header=BB18_475 Depth=2
	v_bfe_u32 v10, v22, 23, 1
; %bb.482:                              ;   in Loop: Header=BB18_475 Depth=2
	s_or_b64 exec, exec, s[2:3]
	v_lshrrev_b64 v[22:23], 20, v[22:23]
	v_cmp_gt_i32_e32 vcc, 16, v10
	v_cndmask_b32_e32 v23, 0, v23, vcc
	v_cndmask_b32_e32 v22, 7, v22, vcc
	v_cmp_ne_u32_e32 vcc, 0, v10
	v_cmp_ne_u64_e64 s[2:3], 0, v[22:23]
	s_or_b64 s[2:3], vcc, s[2:3]
                                        ; implicit-def: $vgpr23
	s_and_saveexec_b64 s[12:13], s[2:3]
	s_xor_b64 s[2:3], exec, s[12:13]
; %bb.483:                              ;   in Loop: Header=BB18_475 Depth=2
	v_min_i32_e32 v10, 15, v10
	v_lshl_or_b32 v3, v10, 3, v3
	v_and_or_b32 v23, v22, 7, v3
                                        ; implicit-def: $vgpr3
; %bb.484:                              ;   in Loop: Header=BB18_475 Depth=2
	s_andn2_saveexec_b64 s[2:3], s[2:3]
; %bb.485:                              ;   in Loop: Header=BB18_475 Depth=2
	v_mov_b32_e32 v23, v3
; %bb.486:                              ;   in Loop: Header=BB18_475 Depth=2
	s_or_b64 exec, exec, s[2:3]
.LBB18_487:                             ;   in Loop: Header=BB18_475 Depth=2
	s_or_b64 exec, exec, s[10:11]
.LBB18_488:                             ;   in Loop: Header=BB18_475 Depth=2
	s_andn2_saveexec_b64 s[2:3], s[8:9]
	s_or_b64 exec, exec, s[2:3]
                                        ; implicit-def: $vgpr22
.LBB18_489:                             ;   in Loop: Header=BB18_475 Depth=2
	s_andn2_saveexec_b64 s[2:3], s[6:7]
	s_cbranch_execz .LBB18_474
; %bb.490:                              ;   in Loop: Header=BB18_475 Depth=2
	v_or_b32_sdwa v3, v22, s40 dst_sel:DWORD dst_unused:UNUSED_PAD src0_sel:BYTE_3 src1_sel:DWORD
	v_cmp_eq_u64_e32 vcc, 0, v[10:11]
	v_cndmask_b32_e32 v23, v3, v23, vcc
	s_branch .LBB18_474
.LBB18_491:                             ;   in Loop: Header=BB18_9 Depth=1
	s_or_b64 exec, exec, s[72:73]
                                        ; implicit-def: $vgpr22_vgpr23
.LBB18_492:                             ;   in Loop: Header=BB18_9 Depth=1
	s_andn2_saveexec_b64 s[4:5], s[70:71]
	s_cbranch_execz .LBB18_8
; %bb.493:                              ;   in Loop: Header=BB18_9 Depth=1
	s_and_saveexec_b64 s[6:7], s[0:1]
	s_cbranch_execz .LBB18_7
; %bb.494:                              ;   in Loop: Header=BB18_9 Depth=1
	v_add_co_u32_e32 v6, vcc, v85, v22
	v_addc_co_u32_e32 v7, vcc, v86, v23, vcc
	s_mov_b64 s[8:9], 0
	v_pk_mov_b32 v[22:23], v[18:19], v[18:19] op_sel:[0,1]
	v_mov_b32_e32 v15, v8
	s_branch .LBB18_496
.LBB18_495:                             ;   in Loop: Header=BB18_496 Depth=2
	s_or_b64 exec, exec, s[2:3]
	v_lshlrev_b32_e32 v4, 16, v34
	v_lshlrev_b32_e32 v3, 24, v36
	v_and_b32_e32 v4, 0xff0000, v4
	v_or_b32_e32 v3, v3, v4
	v_lshlrev_b32_e32 v4, 8, v32
	v_and_b32_e32 v4, 0xff00, v4
	v_and_b32_e32 v5, 0xff, v30
	v_or3_b32 v3, v3, v4, v5
	v_lshlrev_b32_e32 v4, 16, v28
	v_lshlrev_b32_e32 v5, 8, v26
	v_perm_b32 v2, v2, v4, s42
	v_and_or_b32 v2, v5, s41, v2
	v_or_b32_sdwa v2, v2, v24 dst_sel:DWORD dst_unused:UNUSED_PAD src0_sel:DWORD src1_sel:BYTE_0
	global_store_dwordx2 v[22:23], v[2:3], off
	v_add_co_u32_e32 v22, vcc, 0x100, v22
	v_add_u32_e32 v15, 32, v15
	v_addc_co_u32_e32 v23, vcc, 0, v23, vcc
	v_add_co_u32_e32 v6, vcc, 0x200, v6
	v_cmp_le_i32_e64 s[2:3], s85, v15
	s_or_b64 s[8:9], s[2:3], s[8:9]
	v_addc_co_u32_e32 v7, vcc, 0, v7, vcc
	s_andn2_b64 exec, exec, s[8:9]
	s_cbranch_execz .LBB18_7
.LBB18_496:                             ;   Parent Loop BB18_9 Depth=1
                                        ; =>  This Inner Loop Header: Depth=2
	global_load_dwordx4 v[2:5], v[6:7], off
	v_mov_b32_e32 v29, v11
	s_waitcnt vmcnt(0)
	v_cvt_f32_f16_e32 v10, v2
	v_div_scale_f32 v24, s[2:3], s33, s33, v10
	v_rcp_f32_e32 v25, v24
	v_div_scale_f32 v26, vcc, v10, s33, v10
	v_fma_f32 v27, -v24, v25, 1.0
	v_fmac_f32_e32 v25, v27, v25
	v_mul_f32_e32 v27, v26, v25
	v_fma_f32 v28, -v24, v27, v26
	v_fmac_f32_e32 v27, v28, v25
	v_fma_f32 v24, -v24, v27, v26
	v_div_fmas_f32 v24, v24, v25, v27
	v_div_fixup_f32 v10, v24, s33, v10
	v_cvt_f16_f32_e32 v10, v10
	v_cvt_f32_f16_e32 v27, v10
	v_and_b32_sdwa v26, v27, s58 dst_sel:DWORD dst_unused:UNUSED_PAD src0_sel:BYTE_3 src1_sel:DWORD
	v_and_b32_e32 v28, 0x7f800000, v27
	v_and_b32_e32 v10, 0x7fffff, v27
	v_or_b32_e32 v24, 0x7e, v26
	v_cmp_ne_u64_e32 vcc, s[62:63], v[28:29]
	s_and_saveexec_b64 s[2:3], vcc
	s_xor_b64 s[10:11], exec, s[2:3]
	s_cbranch_execz .LBB18_510
; %bb.497:                              ;   in Loop: Header=BB18_496 Depth=2
	v_and_b32_e32 v28, 0x7fffffff, v27
	v_mov_b32_e32 v29, v11
	v_cmp_gt_u64_e32 vcc, s[64:65], v[28:29]
	s_and_saveexec_b64 s[2:3], vcc
	s_xor_b64 s[12:13], exec, s[2:3]
	s_cbranch_execz .LBB18_509
; %bb.498:                              ;   in Loop: Header=BB18_496 Depth=2
	v_cmp_ne_u32_e32 vcc, 0, v27
	v_pk_mov_b32 v[24:25], 0, 0
	s_and_saveexec_b64 s[14:15], vcc
	s_cbranch_execz .LBB18_508
; %bb.499:                              ;   in Loop: Header=BB18_496 Depth=2
	v_bfe_u32 v24, v27, 23, 8
	v_sub_u32_e32 v27, 0x79, v24
	v_cmp_gt_u32_e32 vcc, s59, v24
	v_cndmask_b32_e32 v27, 0, v27, vcc
	v_cmp_eq_u32_e32 vcc, 0, v24
	v_cndmask_b32_e32 v27, v27, v89, vcc
	v_add_u32_e32 v25, 0xffffff81, v24
	v_or_b32_e32 v28, 0x800000, v10
	v_add_u32_e32 v24, 20, v27
	v_cndmask_b32_e32 v29, v25, v88, vcc
	v_cndmask_b32_e32 v10, v28, v10, vcc
	v_lshlrev_b64 v[24:25], v24, -1
	v_not_b32_e32 v24, v24
	v_lshrrev_b64 v[32:33], v27, v[10:11]
	v_not_b32_e32 v25, v25
	v_and_b32_e32 v24, v10, v24
	v_add_u32_e32 v28, 19, v27
	v_lshrrev_b32_e32 v10, 23, v32
	v_and_b32_e32 v25, 0, v25
	v_lshlrev_b64 v[30:31], v28, 1
	v_add3_u32 v28, v27, v29, v10
	v_bfe_u32 v10, v32, 20, 1
	v_add_u32_e32 v10, -1, v10
	v_cmp_eq_u64_e32 vcc, v[24:25], v[30:31]
	v_cndmask_b32_e32 v10, 0, v10, vcc
	v_add_u32_e32 v10, v10, v32
	v_and_b32_e32 v10, 0xfffff, v10
	v_add_co_u32_e32 v24, vcc, v10, v32
	v_add_u32_e32 v27, 6, v28
	v_addc_co_u32_e32 v25, vcc, 0, v33, vcc
	v_cmp_ne_u32_e32 vcc, 0, v27
                                        ; implicit-def: $vgpr10
	s_and_saveexec_b64 s[2:3], vcc
	s_xor_b64 s[2:3], exec, s[2:3]
; %bb.500:                              ;   in Loop: Header=BB18_496 Depth=2
	v_add_u32_e32 v10, 7, v28
	v_cmp_lt_u64_e32 vcc, s[66:67], v[24:25]
	v_cndmask_b32_e32 v10, v27, v10, vcc
	v_cndmask_b32_e64 v27, 0, 1, vcc
	v_lshrrev_b64 v[24:25], v27, v[24:25]
; %bb.501:                              ;   in Loop: Header=BB18_496 Depth=2
	s_andn2_saveexec_b64 s[2:3], s[2:3]
; %bb.502:                              ;   in Loop: Header=BB18_496 Depth=2
	v_bfe_u32 v10, v24, 23, 1
; %bb.503:                              ;   in Loop: Header=BB18_496 Depth=2
	s_or_b64 exec, exec, s[2:3]
	v_lshrrev_b64 v[24:25], 20, v[24:25]
	v_cmp_gt_i32_e32 vcc, 16, v10
	v_cndmask_b32_e32 v29, 0, v25, vcc
	v_cndmask_b32_e32 v28, 7, v24, vcc
	v_cmp_ne_u32_e32 vcc, 0, v10
	v_cmp_ne_u64_e64 s[2:3], 0, v[28:29]
	s_or_b64 s[2:3], vcc, s[2:3]
                                        ; implicit-def: $vgpr24_vgpr25
	s_and_saveexec_b64 s[16:17], s[2:3]
	s_xor_b64 s[2:3], exec, s[16:17]
; %bb.504:                              ;   in Loop: Header=BB18_496 Depth=2
	v_min_i32_e32 v10, 15, v10
	v_lshl_or_b32 v10, v10, 3, v26
	v_and_or_b32 v24, v28, 7, v10
                                        ; implicit-def: $vgpr26
; %bb.505:                              ;   in Loop: Header=BB18_496 Depth=2
	s_andn2_saveexec_b64 s[2:3], s[2:3]
; %bb.506:                              ;   in Loop: Header=BB18_496 Depth=2
	v_pk_mov_b32 v[24:25], v[26:27], v[26:27] op_sel:[0,1]
; %bb.507:                              ;   in Loop: Header=BB18_496 Depth=2
	s_or_b64 exec, exec, s[2:3]
.LBB18_508:                             ;   in Loop: Header=BB18_496 Depth=2
	s_or_b64 exec, exec, s[14:15]
.LBB18_509:                             ;   in Loop: Header=BB18_496 Depth=2
	s_andn2_saveexec_b64 s[2:3], s[12:13]
	s_or_b64 exec, exec, s[2:3]
                                        ; implicit-def: $vgpr27
.LBB18_510:                             ;   in Loop: Header=BB18_496 Depth=2
	s_andn2_saveexec_b64 s[2:3], s[10:11]
; %bb.511:                              ;   in Loop: Header=BB18_496 Depth=2
	v_or_b32_sdwa v25, v27, s40 dst_sel:DWORD dst_unused:UNUSED_PAD src0_sel:BYTE_3 src1_sel:DWORD
	v_cmp_eq_u64_e32 vcc, 0, v[10:11]
	v_cndmask_b32_e32 v24, v25, v24, vcc
; %bb.512:                              ;   in Loop: Header=BB18_496 Depth=2
	s_or_b64 exec, exec, s[2:3]
	v_cvt_f32_f16_sdwa v2, v2 dst_sel:DWORD dst_unused:UNUSED_PAD src0_sel:WORD_1
	v_mov_b32_e32 v29, v11
	v_div_scale_f32 v10, s[2:3], s33, s33, v2
	v_rcp_f32_e32 v25, v10
	v_div_scale_f32 v26, vcc, v2, s33, v2
	v_fma_f32 v27, -v10, v25, 1.0
	v_fmac_f32_e32 v25, v27, v25
	v_mul_f32_e32 v27, v26, v25
	v_fma_f32 v28, -v10, v27, v26
	v_fmac_f32_e32 v27, v28, v25
	v_fma_f32 v10, -v10, v27, v26
	v_div_fmas_f32 v10, v10, v25, v27
	v_div_fixup_f32 v2, v10, s33, v2
	v_cvt_f16_f32_e32 v2, v2
	v_cvt_f32_f16_e32 v25, v2
	v_and_b32_sdwa v2, v25, s58 dst_sel:DWORD dst_unused:UNUSED_PAD src0_sel:BYTE_3 src1_sel:DWORD
	v_and_b32_e32 v28, 0x7f800000, v25
	v_and_b32_e32 v10, 0x7fffff, v25
	v_or_b32_e32 v26, 0x7e, v2
	v_cmp_ne_u64_e32 vcc, s[62:63], v[28:29]
	s_and_saveexec_b64 s[2:3], vcc
	s_xor_b64 s[10:11], exec, s[2:3]
	s_cbranch_execz .LBB18_526
; %bb.513:                              ;   in Loop: Header=BB18_496 Depth=2
	v_and_b32_e32 v28, 0x7fffffff, v25
	v_mov_b32_e32 v29, v11
	v_cmp_gt_u64_e32 vcc, s[64:65], v[28:29]
	s_and_saveexec_b64 s[2:3], vcc
	s_xor_b64 s[12:13], exec, s[2:3]
	s_cbranch_execz .LBB18_525
; %bb.514:                              ;   in Loop: Header=BB18_496 Depth=2
	v_cmp_ne_u32_e32 vcc, 0, v25
	v_pk_mov_b32 v[26:27], 0, 0
	s_and_saveexec_b64 s[14:15], vcc
	s_cbranch_execz .LBB18_524
; %bb.515:                              ;   in Loop: Header=BB18_496 Depth=2
	v_bfe_u32 v25, v25, 23, 8
	v_sub_u32_e32 v27, 0x79, v25
	v_cmp_gt_u32_e32 vcc, s59, v25
	v_cndmask_b32_e32 v27, 0, v27, vcc
	v_cmp_eq_u32_e32 vcc, 0, v25
	v_add_u32_e32 v26, 0xffffff81, v25
	v_cndmask_b32_e32 v29, v27, v89, vcc
	v_or_b32_e32 v28, 0x800000, v10
	v_cndmask_b32_e32 v25, v26, v88, vcc
	v_add_u32_e32 v26, 20, v29
	v_cndmask_b32_e32 v10, v28, v10, vcc
	v_lshlrev_b64 v[26:27], v26, -1
	v_not_b32_e32 v26, v26
	v_lshrrev_b64 v[32:33], v29, v[10:11]
	v_not_b32_e32 v27, v27
	v_and_b32_e32 v26, v10, v26
	v_add_u32_e32 v28, 19, v29
	v_lshrrev_b32_e32 v10, 23, v32
	v_and_b32_e32 v27, 0, v27
	v_lshlrev_b64 v[30:31], v28, 1
	v_add3_u32 v28, v29, v25, v10
	v_bfe_u32 v10, v32, 20, 1
	v_add_u32_e32 v10, -1, v10
	v_cmp_eq_u64_e32 vcc, v[26:27], v[30:31]
	v_cndmask_b32_e32 v10, 0, v10, vcc
	v_add_u32_e32 v10, v10, v32
	v_and_b32_e32 v10, 0xfffff, v10
	v_add_co_u32_e32 v26, vcc, v10, v32
	v_add_u32_e32 v25, 6, v28
	v_addc_co_u32_e32 v27, vcc, 0, v33, vcc
	v_cmp_ne_u32_e32 vcc, 0, v25
                                        ; implicit-def: $vgpr10
	s_and_saveexec_b64 s[2:3], vcc
	s_xor_b64 s[2:3], exec, s[2:3]
; %bb.516:                              ;   in Loop: Header=BB18_496 Depth=2
	v_add_u32_e32 v10, 7, v28
	v_cmp_lt_u64_e32 vcc, s[66:67], v[26:27]
	v_cndmask_b32_e32 v10, v25, v10, vcc
	v_cndmask_b32_e64 v25, 0, 1, vcc
	v_lshrrev_b64 v[26:27], v25, v[26:27]
; %bb.517:                              ;   in Loop: Header=BB18_496 Depth=2
	s_andn2_saveexec_b64 s[2:3], s[2:3]
; %bb.518:                              ;   in Loop: Header=BB18_496 Depth=2
	v_bfe_u32 v10, v26, 23, 1
; %bb.519:                              ;   in Loop: Header=BB18_496 Depth=2
	s_or_b64 exec, exec, s[2:3]
	v_lshrrev_b64 v[26:27], 20, v[26:27]
	v_cmp_gt_i32_e32 vcc, 16, v10
	v_cndmask_b32_e32 v29, 0, v27, vcc
	v_cndmask_b32_e32 v28, 7, v26, vcc
	v_cmp_ne_u32_e32 vcc, 0, v10
	v_cmp_ne_u64_e64 s[2:3], 0, v[28:29]
	s_or_b64 s[2:3], vcc, s[2:3]
                                        ; implicit-def: $vgpr26_vgpr27
	s_and_saveexec_b64 s[16:17], s[2:3]
	s_xor_b64 s[2:3], exec, s[16:17]
; %bb.520:                              ;   in Loop: Header=BB18_496 Depth=2
	v_min_i32_e32 v10, 15, v10
	v_lshl_or_b32 v2, v10, 3, v2
	v_and_or_b32 v26, v28, 7, v2
                                        ; implicit-def: $vgpr2
; %bb.521:                              ;   in Loop: Header=BB18_496 Depth=2
	s_andn2_saveexec_b64 s[2:3], s[2:3]
; %bb.522:                              ;   in Loop: Header=BB18_496 Depth=2
	v_pk_mov_b32 v[26:27], v[2:3], v[2:3] op_sel:[0,1]
; %bb.523:                              ;   in Loop: Header=BB18_496 Depth=2
	s_or_b64 exec, exec, s[2:3]
.LBB18_524:                             ;   in Loop: Header=BB18_496 Depth=2
	s_or_b64 exec, exec, s[14:15]
.LBB18_525:                             ;   in Loop: Header=BB18_496 Depth=2
	s_andn2_saveexec_b64 s[2:3], s[12:13]
	s_or_b64 exec, exec, s[2:3]
                                        ; implicit-def: $vgpr25
.LBB18_526:                             ;   in Loop: Header=BB18_496 Depth=2
	s_andn2_saveexec_b64 s[2:3], s[10:11]
; %bb.527:                              ;   in Loop: Header=BB18_496 Depth=2
	v_or_b32_sdwa v2, v25, s40 dst_sel:DWORD dst_unused:UNUSED_PAD src0_sel:BYTE_3 src1_sel:DWORD
	v_cmp_eq_u64_e32 vcc, 0, v[10:11]
	v_cndmask_b32_e32 v26, v2, v26, vcc
; %bb.528:                              ;   in Loop: Header=BB18_496 Depth=2
	s_or_b64 exec, exec, s[2:3]
	v_cvt_f32_f16_e32 v2, v3
	v_mov_b32_e32 v31, v11
	v_div_scale_f32 v10, s[2:3], s33, s33, v2
	v_rcp_f32_e32 v25, v10
	v_div_scale_f32 v27, vcc, v2, s33, v2
	v_fma_f32 v28, -v10, v25, 1.0
	v_fmac_f32_e32 v25, v28, v25
	v_mul_f32_e32 v28, v27, v25
	v_fma_f32 v29, -v10, v28, v27
	v_fmac_f32_e32 v28, v29, v25
	v_fma_f32 v10, -v10, v28, v27
	v_div_fmas_f32 v10, v10, v25, v28
	v_div_fixup_f32 v2, v10, s33, v2
	v_cvt_f16_f32_e32 v2, v2
	v_cvt_f32_f16_e32 v25, v2
	v_and_b32_sdwa v2, v25, s58 dst_sel:DWORD dst_unused:UNUSED_PAD src0_sel:BYTE_3 src1_sel:DWORD
	v_and_b32_e32 v30, 0x7f800000, v25
	v_and_b32_e32 v10, 0x7fffff, v25
	v_or_b32_e32 v28, 0x7e, v2
	v_cmp_ne_u64_e32 vcc, s[62:63], v[30:31]
	s_and_saveexec_b64 s[2:3], vcc
	s_xor_b64 s[10:11], exec, s[2:3]
	s_cbranch_execz .LBB18_542
; %bb.529:                              ;   in Loop: Header=BB18_496 Depth=2
	v_and_b32_e32 v30, 0x7fffffff, v25
	v_mov_b32_e32 v31, v11
	v_cmp_gt_u64_e32 vcc, s[64:65], v[30:31]
	s_and_saveexec_b64 s[2:3], vcc
	s_xor_b64 s[12:13], exec, s[2:3]
	s_cbranch_execz .LBB18_541
; %bb.530:                              ;   in Loop: Header=BB18_496 Depth=2
	v_cmp_ne_u32_e32 vcc, 0, v25
	v_pk_mov_b32 v[28:29], 0, 0
	s_and_saveexec_b64 s[14:15], vcc
	s_cbranch_execz .LBB18_540
; %bb.531:                              ;   in Loop: Header=BB18_496 Depth=2
	v_bfe_u32 v25, v25, 23, 8
	v_sub_u32_e32 v28, 0x79, v25
	v_cmp_gt_u32_e32 vcc, s59, v25
	v_add_u32_e32 v27, 0xffffff81, v25
	v_cndmask_b32_e32 v28, 0, v28, vcc
	v_cmp_eq_u32_e32 vcc, 0, v25
	v_cndmask_b32_e32 v25, v27, v88, vcc
	v_cndmask_b32_e32 v27, v28, v89, vcc
	v_or_b32_e32 v29, 0x800000, v10
	v_add_u32_e32 v28, 20, v27
	v_cndmask_b32_e32 v10, v29, v10, vcc
	v_lshlrev_b64 v[28:29], v28, -1
	v_not_b32_e32 v28, v28
	v_lshrrev_b64 v[32:33], v27, v[10:11]
	v_not_b32_e32 v29, v29
	v_and_b32_e32 v28, v10, v28
	v_add_u32_e32 v30, 19, v27
	v_lshrrev_b32_e32 v10, 23, v32
	v_and_b32_e32 v29, 0, v29
	v_lshlrev_b64 v[30:31], v30, 1
	v_add3_u32 v27, v27, v25, v10
	v_bfe_u32 v10, v32, 20, 1
	v_add_u32_e32 v10, -1, v10
	v_cmp_eq_u64_e32 vcc, v[28:29], v[30:31]
	v_cndmask_b32_e32 v10, 0, v10, vcc
	v_add_u32_e32 v10, v10, v32
	v_and_b32_e32 v10, 0xfffff, v10
	v_add_co_u32_e32 v28, vcc, v10, v32
	v_add_u32_e32 v25, 6, v27
	v_addc_co_u32_e32 v29, vcc, 0, v33, vcc
	v_cmp_ne_u32_e32 vcc, 0, v25
                                        ; implicit-def: $vgpr10
	s_and_saveexec_b64 s[2:3], vcc
	s_xor_b64 s[2:3], exec, s[2:3]
; %bb.532:                              ;   in Loop: Header=BB18_496 Depth=2
	v_add_u32_e32 v10, 7, v27
	v_cmp_lt_u64_e32 vcc, s[66:67], v[28:29]
	v_cndmask_b32_e32 v10, v25, v10, vcc
	v_cndmask_b32_e64 v25, 0, 1, vcc
	v_lshrrev_b64 v[28:29], v25, v[28:29]
; %bb.533:                              ;   in Loop: Header=BB18_496 Depth=2
	s_andn2_saveexec_b64 s[2:3], s[2:3]
; %bb.534:                              ;   in Loop: Header=BB18_496 Depth=2
	v_bfe_u32 v10, v28, 23, 1
; %bb.535:                              ;   in Loop: Header=BB18_496 Depth=2
	s_or_b64 exec, exec, s[2:3]
	v_lshrrev_b64 v[28:29], 20, v[28:29]
	v_cmp_gt_i32_e32 vcc, 16, v10
	v_cndmask_b32_e32 v31, 0, v29, vcc
	v_cndmask_b32_e32 v30, 7, v28, vcc
	v_cmp_ne_u32_e32 vcc, 0, v10
	v_cmp_ne_u64_e64 s[2:3], 0, v[30:31]
	s_or_b64 s[2:3], vcc, s[2:3]
                                        ; implicit-def: $vgpr28_vgpr29
	s_and_saveexec_b64 s[16:17], s[2:3]
	s_xor_b64 s[2:3], exec, s[16:17]
; %bb.536:                              ;   in Loop: Header=BB18_496 Depth=2
	v_min_i32_e32 v10, 15, v10
	v_lshl_or_b32 v2, v10, 3, v2
	v_and_or_b32 v28, v30, 7, v2
                                        ; implicit-def: $vgpr2
; %bb.537:                              ;   in Loop: Header=BB18_496 Depth=2
	s_andn2_saveexec_b64 s[2:3], s[2:3]
; %bb.538:                              ;   in Loop: Header=BB18_496 Depth=2
	v_pk_mov_b32 v[28:29], v[2:3], v[2:3] op_sel:[0,1]
; %bb.539:                              ;   in Loop: Header=BB18_496 Depth=2
	s_or_b64 exec, exec, s[2:3]
.LBB18_540:                             ;   in Loop: Header=BB18_496 Depth=2
	s_or_b64 exec, exec, s[14:15]
.LBB18_541:                             ;   in Loop: Header=BB18_496 Depth=2
	s_andn2_saveexec_b64 s[2:3], s[12:13]
	s_or_b64 exec, exec, s[2:3]
                                        ; implicit-def: $vgpr25
.LBB18_542:                             ;   in Loop: Header=BB18_496 Depth=2
	s_andn2_saveexec_b64 s[2:3], s[10:11]
; %bb.543:                              ;   in Loop: Header=BB18_496 Depth=2
	v_or_b32_sdwa v2, v25, s40 dst_sel:DWORD dst_unused:UNUSED_PAD src0_sel:BYTE_3 src1_sel:DWORD
	v_cmp_eq_u64_e32 vcc, 0, v[10:11]
	v_cndmask_b32_e32 v28, v2, v28, vcc
; %bb.544:                              ;   in Loop: Header=BB18_496 Depth=2
	s_or_b64 exec, exec, s[2:3]
	v_cvt_f32_f16_sdwa v2, v3 dst_sel:DWORD dst_unused:UNUSED_PAD src0_sel:WORD_1
	v_mov_b32_e32 v33, v11
	v_div_scale_f32 v3, s[2:3], s33, s33, v2
	v_rcp_f32_e32 v10, v3
	v_div_scale_f32 v25, vcc, v2, s33, v2
	v_fma_f32 v27, -v3, v10, 1.0
	v_fmac_f32_e32 v10, v27, v10
	v_mul_f32_e32 v27, v25, v10
	v_fma_f32 v29, -v3, v27, v25
	v_fmac_f32_e32 v27, v29, v10
	v_fma_f32 v3, -v3, v27, v25
	v_div_fmas_f32 v3, v3, v10, v27
	v_div_fixup_f32 v2, v3, s33, v2
	v_cvt_f16_f32_e32 v2, v2
	v_cvt_f32_f16_e32 v25, v2
	v_and_b32_sdwa v30, v25, s58 dst_sel:DWORD dst_unused:UNUSED_PAD src0_sel:BYTE_3 src1_sel:DWORD
	v_and_b32_e32 v32, 0x7f800000, v25
	v_and_b32_e32 v10, 0x7fffff, v25
	v_or_b32_e32 v2, 0x7e, v30
	v_cmp_ne_u64_e32 vcc, s[62:63], v[32:33]
	s_and_saveexec_b64 s[2:3], vcc
	s_xor_b64 s[10:11], exec, s[2:3]
	s_cbranch_execz .LBB18_558
; %bb.545:                              ;   in Loop: Header=BB18_496 Depth=2
	v_and_b32_e32 v32, 0x7fffffff, v25
	v_mov_b32_e32 v33, v11
	v_cmp_gt_u64_e32 vcc, s[64:65], v[32:33]
	s_and_saveexec_b64 s[2:3], vcc
	s_xor_b64 s[12:13], exec, s[2:3]
	s_cbranch_execz .LBB18_557
; %bb.546:                              ;   in Loop: Header=BB18_496 Depth=2
	v_cmp_ne_u32_e32 vcc, 0, v25
	v_pk_mov_b32 v[2:3], 0, 0
	s_and_saveexec_b64 s[14:15], vcc
	s_cbranch_execz .LBB18_556
; %bb.547:                              ;   in Loop: Header=BB18_496 Depth=2
	v_bfe_u32 v2, v25, 23, 8
	v_sub_u32_e32 v25, 0x79, v2
	v_cmp_gt_u32_e32 vcc, s59, v2
	v_cndmask_b32_e32 v25, 0, v25, vcc
	v_cmp_eq_u32_e32 vcc, 0, v2
	v_cndmask_b32_e32 v25, v25, v89, vcc
	v_add_u32_e32 v3, 0xffffff81, v2
	v_or_b32_e32 v27, 0x800000, v10
	v_add_u32_e32 v2, 20, v25
	v_cndmask_b32_e32 v29, v3, v88, vcc
	v_cndmask_b32_e32 v10, v27, v10, vcc
	v_lshlrev_b64 v[2:3], v2, -1
	v_not_b32_e32 v2, v2
	v_lshrrev_b64 v[34:35], v25, v[10:11]
	v_not_b32_e32 v3, v3
	v_and_b32_e32 v2, v10, v2
	v_add_u32_e32 v27, 19, v25
	v_lshrrev_b32_e32 v10, 23, v34
	v_and_b32_e32 v3, 0, v3
	v_lshlrev_b64 v[32:33], v27, 1
	v_add3_u32 v27, v25, v29, v10
	v_bfe_u32 v10, v34, 20, 1
	v_add_u32_e32 v10, -1, v10
	v_cmp_eq_u64_e32 vcc, v[2:3], v[32:33]
	v_cndmask_b32_e32 v2, 0, v10, vcc
	v_add_u32_e32 v2, v2, v34
	v_and_b32_e32 v2, 0xfffff, v2
	v_add_co_u32_e32 v2, vcc, v2, v34
	v_add_u32_e32 v25, 6, v27
	v_addc_co_u32_e32 v3, vcc, 0, v35, vcc
	v_cmp_ne_u32_e32 vcc, 0, v25
                                        ; implicit-def: $vgpr10
	s_and_saveexec_b64 s[2:3], vcc
	s_xor_b64 s[2:3], exec, s[2:3]
; %bb.548:                              ;   in Loop: Header=BB18_496 Depth=2
	v_add_u32_e32 v10, 7, v27
	v_cmp_lt_u64_e32 vcc, s[66:67], v[2:3]
	v_cndmask_b32_e32 v10, v25, v10, vcc
	v_cndmask_b32_e64 v25, 0, 1, vcc
	v_lshrrev_b64 v[2:3], v25, v[2:3]
; %bb.549:                              ;   in Loop: Header=BB18_496 Depth=2
	s_andn2_saveexec_b64 s[2:3], s[2:3]
; %bb.550:                              ;   in Loop: Header=BB18_496 Depth=2
	v_bfe_u32 v10, v2, 23, 1
; %bb.551:                              ;   in Loop: Header=BB18_496 Depth=2
	s_or_b64 exec, exec, s[2:3]
	v_lshrrev_b64 v[2:3], 20, v[2:3]
	v_cmp_gt_i32_e32 vcc, 16, v10
	v_cndmask_b32_e32 v33, 0, v3, vcc
	v_cndmask_b32_e32 v32, 7, v2, vcc
	v_cmp_ne_u32_e32 vcc, 0, v10
	v_cmp_ne_u64_e64 s[2:3], 0, v[32:33]
	s_or_b64 s[2:3], vcc, s[2:3]
                                        ; implicit-def: $vgpr2_vgpr3
	s_and_saveexec_b64 s[16:17], s[2:3]
	s_xor_b64 s[2:3], exec, s[16:17]
; %bb.552:                              ;   in Loop: Header=BB18_496 Depth=2
	v_min_i32_e32 v2, 15, v10
	v_lshl_or_b32 v2, v2, 3, v30
	v_and_or_b32 v2, v32, 7, v2
                                        ; implicit-def: $vgpr30
; %bb.553:                              ;   in Loop: Header=BB18_496 Depth=2
	s_andn2_saveexec_b64 s[2:3], s[2:3]
; %bb.554:                              ;   in Loop: Header=BB18_496 Depth=2
	v_pk_mov_b32 v[2:3], v[30:31], v[30:31] op_sel:[0,1]
; %bb.555:                              ;   in Loop: Header=BB18_496 Depth=2
	s_or_b64 exec, exec, s[2:3]
.LBB18_556:                             ;   in Loop: Header=BB18_496 Depth=2
	s_or_b64 exec, exec, s[14:15]
.LBB18_557:                             ;   in Loop: Header=BB18_496 Depth=2
	s_andn2_saveexec_b64 s[2:3], s[12:13]
	s_or_b64 exec, exec, s[2:3]
                                        ; implicit-def: $vgpr25
.LBB18_558:                             ;   in Loop: Header=BB18_496 Depth=2
	s_andn2_saveexec_b64 s[2:3], s[10:11]
; %bb.559:                              ;   in Loop: Header=BB18_496 Depth=2
	v_or_b32_sdwa v3, v25, s40 dst_sel:DWORD dst_unused:UNUSED_PAD src0_sel:BYTE_3 src1_sel:DWORD
	v_cmp_eq_u64_e32 vcc, 0, v[10:11]
	v_cndmask_b32_e32 v2, v3, v2, vcc
; %bb.560:                              ;   in Loop: Header=BB18_496 Depth=2
	s_or_b64 exec, exec, s[2:3]
	v_cvt_f32_f16_e32 v3, v4
	v_mov_b32_e32 v35, v11
	v_div_scale_f32 v10, s[2:3], s33, s33, v3
	v_rcp_f32_e32 v25, v10
	v_div_scale_f32 v27, vcc, v3, s33, v3
	v_fma_f32 v29, -v10, v25, 1.0
	v_fmac_f32_e32 v25, v29, v25
	v_mul_f32_e32 v29, v27, v25
	v_fma_f32 v30, -v10, v29, v27
	v_fmac_f32_e32 v29, v30, v25
	v_fma_f32 v10, -v10, v29, v27
	v_div_fmas_f32 v10, v10, v25, v29
	v_div_fixup_f32 v3, v10, s33, v3
	v_cvt_f16_f32_e32 v3, v3
	v_cvt_f32_f16_e32 v3, v3
	v_and_b32_sdwa v32, v3, s58 dst_sel:DWORD dst_unused:UNUSED_PAD src0_sel:BYTE_3 src1_sel:DWORD
	v_and_b32_e32 v34, 0x7f800000, v3
	v_and_b32_e32 v10, 0x7fffff, v3
	v_or_b32_e32 v30, 0x7e, v32
	v_cmp_ne_u64_e32 vcc, s[62:63], v[34:35]
	s_and_saveexec_b64 s[2:3], vcc
	s_xor_b64 s[10:11], exec, s[2:3]
	s_cbranch_execz .LBB18_574
; %bb.561:                              ;   in Loop: Header=BB18_496 Depth=2
	v_and_b32_e32 v34, 0x7fffffff, v3
	v_mov_b32_e32 v35, v11
	v_cmp_gt_u64_e32 vcc, s[64:65], v[34:35]
	s_and_saveexec_b64 s[2:3], vcc
	s_xor_b64 s[12:13], exec, s[2:3]
	s_cbranch_execz .LBB18_573
; %bb.562:                              ;   in Loop: Header=BB18_496 Depth=2
	v_cmp_ne_u32_e32 vcc, 0, v3
	v_pk_mov_b32 v[30:31], 0, 0
	s_and_saveexec_b64 s[14:15], vcc
	s_cbranch_execz .LBB18_572
; %bb.563:                              ;   in Loop: Header=BB18_496 Depth=2
	v_bfe_u32 v3, v3, 23, 8
	v_sub_u32_e32 v27, 0x79, v3
	v_cmp_gt_u32_e32 vcc, s59, v3
	v_add_u32_e32 v25, 0xffffff81, v3
	v_cndmask_b32_e32 v27, 0, v27, vcc
	v_cmp_eq_u32_e32 vcc, 0, v3
	v_cndmask_b32_e32 v3, v25, v88, vcc
	v_cndmask_b32_e32 v25, v27, v89, vcc
	v_or_b32_e32 v29, 0x800000, v10
	v_add_u32_e32 v27, 20, v25
	v_cndmask_b32_e32 v10, v29, v10, vcc
	v_lshlrev_b64 v[30:31], v27, -1
	v_not_b32_e32 v27, v31
	v_not_b32_e32 v29, v30
	v_lshrrev_b64 v[36:37], v25, v[10:11]
	v_and_b32_e32 v31, 0, v27
	v_and_b32_e32 v30, v10, v29
	v_add_u32_e32 v27, 19, v25
	v_lshrrev_b32_e32 v10, 23, v36
	v_lshlrev_b64 v[34:35], v27, 1
	v_add3_u32 v25, v25, v3, v10
	v_bfe_u32 v3, v36, 20, 1
	v_add_u32_e32 v3, -1, v3
	v_cmp_eq_u64_e32 vcc, v[30:31], v[34:35]
	v_cndmask_b32_e32 v3, 0, v3, vcc
	v_add_u32_e32 v3, v3, v36
	v_and_b32_e32 v3, 0xfffff, v3
	v_add_co_u32_e32 v30, vcc, v3, v36
	v_add_u32_e32 v10, 6, v25
	v_addc_co_u32_e32 v31, vcc, 0, v37, vcc
	v_cmp_ne_u32_e32 vcc, 0, v10
                                        ; implicit-def: $vgpr3
	s_and_saveexec_b64 s[2:3], vcc
	s_xor_b64 s[2:3], exec, s[2:3]
; %bb.564:                              ;   in Loop: Header=BB18_496 Depth=2
	v_add_u32_e32 v3, 7, v25
	v_cmp_lt_u64_e32 vcc, s[66:67], v[30:31]
	v_cndmask_b32_e32 v3, v10, v3, vcc
	v_cndmask_b32_e64 v10, 0, 1, vcc
	v_lshrrev_b64 v[30:31], v10, v[30:31]
; %bb.565:                              ;   in Loop: Header=BB18_496 Depth=2
	s_andn2_saveexec_b64 s[2:3], s[2:3]
; %bb.566:                              ;   in Loop: Header=BB18_496 Depth=2
	v_bfe_u32 v3, v30, 23, 1
; %bb.567:                              ;   in Loop: Header=BB18_496 Depth=2
	s_or_b64 exec, exec, s[2:3]
	v_lshrrev_b64 v[30:31], 20, v[30:31]
	v_cmp_gt_i32_e32 vcc, 16, v3
	v_cndmask_b32_e32 v35, 0, v31, vcc
	v_cndmask_b32_e32 v34, 7, v30, vcc
	v_cmp_ne_u32_e32 vcc, 0, v3
	v_cmp_ne_u64_e64 s[2:3], 0, v[34:35]
	s_or_b64 s[2:3], vcc, s[2:3]
                                        ; implicit-def: $vgpr30_vgpr31
	s_and_saveexec_b64 s[16:17], s[2:3]
	s_xor_b64 s[2:3], exec, s[16:17]
; %bb.568:                              ;   in Loop: Header=BB18_496 Depth=2
	v_min_i32_e32 v3, 15, v3
	v_lshl_or_b32 v3, v3, 3, v32
	v_and_or_b32 v30, v34, 7, v3
                                        ; implicit-def: $vgpr32
; %bb.569:                              ;   in Loop: Header=BB18_496 Depth=2
	s_andn2_saveexec_b64 s[2:3], s[2:3]
; %bb.570:                              ;   in Loop: Header=BB18_496 Depth=2
	v_pk_mov_b32 v[30:31], v[32:33], v[32:33] op_sel:[0,1]
; %bb.571:                              ;   in Loop: Header=BB18_496 Depth=2
	s_or_b64 exec, exec, s[2:3]
.LBB18_572:                             ;   in Loop: Header=BB18_496 Depth=2
	s_or_b64 exec, exec, s[14:15]
.LBB18_573:                             ;   in Loop: Header=BB18_496 Depth=2
	s_andn2_saveexec_b64 s[2:3], s[12:13]
	s_or_b64 exec, exec, s[2:3]
                                        ; implicit-def: $vgpr3
.LBB18_574:                             ;   in Loop: Header=BB18_496 Depth=2
	s_andn2_saveexec_b64 s[2:3], s[10:11]
; %bb.575:                              ;   in Loop: Header=BB18_496 Depth=2
	v_or_b32_sdwa v3, v3, s40 dst_sel:DWORD dst_unused:UNUSED_PAD src0_sel:BYTE_3 src1_sel:DWORD
	v_cmp_eq_u64_e32 vcc, 0, v[10:11]
	v_cndmask_b32_e32 v30, v3, v30, vcc
; %bb.576:                              ;   in Loop: Header=BB18_496 Depth=2
	s_or_b64 exec, exec, s[2:3]
	v_cvt_f32_f16_sdwa v3, v4 dst_sel:DWORD dst_unused:UNUSED_PAD src0_sel:WORD_1
	v_mov_b32_e32 v35, v11
	v_div_scale_f32 v4, s[2:3], s33, s33, v3
	v_rcp_f32_e32 v10, v4
	v_div_scale_f32 v25, vcc, v3, s33, v3
	v_fma_f32 v27, -v4, v10, 1.0
	v_fmac_f32_e32 v10, v27, v10
	v_mul_f32_e32 v27, v25, v10
	v_fma_f32 v29, -v4, v27, v25
	v_fmac_f32_e32 v27, v29, v10
	v_fma_f32 v4, -v4, v27, v25
	v_div_fmas_f32 v4, v4, v10, v27
	v_div_fixup_f32 v3, v4, s33, v3
	v_cvt_f16_f32_e32 v3, v3
	v_cvt_f32_f16_e32 v3, v3
	v_and_b32_sdwa v4, v3, s58 dst_sel:DWORD dst_unused:UNUSED_PAD src0_sel:BYTE_3 src1_sel:DWORD
	v_and_b32_e32 v34, 0x7f800000, v3
	v_and_b32_e32 v10, 0x7fffff, v3
	v_or_b32_e32 v32, 0x7e, v4
	v_cmp_ne_u64_e32 vcc, s[62:63], v[34:35]
	s_and_saveexec_b64 s[2:3], vcc
	s_xor_b64 s[10:11], exec, s[2:3]
	s_cbranch_execz .LBB18_590
; %bb.577:                              ;   in Loop: Header=BB18_496 Depth=2
	v_and_b32_e32 v34, 0x7fffffff, v3
	v_mov_b32_e32 v35, v11
	v_cmp_gt_u64_e32 vcc, s[64:65], v[34:35]
	s_and_saveexec_b64 s[2:3], vcc
	s_xor_b64 s[12:13], exec, s[2:3]
	s_cbranch_execz .LBB18_589
; %bb.578:                              ;   in Loop: Header=BB18_496 Depth=2
	v_cmp_ne_u32_e32 vcc, 0, v3
	v_pk_mov_b32 v[32:33], 0, 0
	s_and_saveexec_b64 s[14:15], vcc
	s_cbranch_execz .LBB18_588
; %bb.579:                              ;   in Loop: Header=BB18_496 Depth=2
	v_bfe_u32 v3, v3, 23, 8
	v_sub_u32_e32 v27, 0x79, v3
	v_cmp_gt_u32_e32 vcc, s59, v3
	v_add_u32_e32 v25, 0xffffff81, v3
	v_cndmask_b32_e32 v27, 0, v27, vcc
	v_cmp_eq_u32_e32 vcc, 0, v3
	v_cndmask_b32_e32 v3, v25, v88, vcc
	v_cndmask_b32_e32 v25, v27, v89, vcc
	v_or_b32_e32 v29, 0x800000, v10
	v_add_u32_e32 v27, 20, v25
	v_cndmask_b32_e32 v10, v29, v10, vcc
	v_lshlrev_b64 v[32:33], v27, -1
	v_not_b32_e32 v27, v33
	v_not_b32_e32 v29, v32
	v_lshrrev_b64 v[36:37], v25, v[10:11]
	v_and_b32_e32 v33, 0, v27
	v_and_b32_e32 v32, v10, v29
	v_add_u32_e32 v27, 19, v25
	v_lshrrev_b32_e32 v10, 23, v36
	v_lshlrev_b64 v[34:35], v27, 1
	v_add3_u32 v25, v25, v3, v10
	v_bfe_u32 v3, v36, 20, 1
	v_add_u32_e32 v3, -1, v3
	v_cmp_eq_u64_e32 vcc, v[32:33], v[34:35]
	v_cndmask_b32_e32 v3, 0, v3, vcc
	v_add_u32_e32 v3, v3, v36
	v_and_b32_e32 v3, 0xfffff, v3
	v_add_co_u32_e32 v32, vcc, v3, v36
	v_add_u32_e32 v10, 6, v25
	v_addc_co_u32_e32 v33, vcc, 0, v37, vcc
	v_cmp_ne_u32_e32 vcc, 0, v10
                                        ; implicit-def: $vgpr3
	s_and_saveexec_b64 s[2:3], vcc
	s_xor_b64 s[2:3], exec, s[2:3]
; %bb.580:                              ;   in Loop: Header=BB18_496 Depth=2
	v_add_u32_e32 v3, 7, v25
	v_cmp_lt_u64_e32 vcc, s[66:67], v[32:33]
	v_cndmask_b32_e32 v3, v10, v3, vcc
	v_cndmask_b32_e64 v10, 0, 1, vcc
	v_lshrrev_b64 v[32:33], v10, v[32:33]
; %bb.581:                              ;   in Loop: Header=BB18_496 Depth=2
	s_andn2_saveexec_b64 s[2:3], s[2:3]
; %bb.582:                              ;   in Loop: Header=BB18_496 Depth=2
	v_bfe_u32 v3, v32, 23, 1
; %bb.583:                              ;   in Loop: Header=BB18_496 Depth=2
	s_or_b64 exec, exec, s[2:3]
	v_lshrrev_b64 v[32:33], 20, v[32:33]
	v_cmp_gt_i32_e32 vcc, 16, v3
	v_cndmask_b32_e32 v35, 0, v33, vcc
	v_cndmask_b32_e32 v34, 7, v32, vcc
	v_cmp_ne_u32_e32 vcc, 0, v3
	v_cmp_ne_u64_e64 s[2:3], 0, v[34:35]
	s_or_b64 s[2:3], vcc, s[2:3]
                                        ; implicit-def: $vgpr32_vgpr33
	s_and_saveexec_b64 s[16:17], s[2:3]
	s_xor_b64 s[2:3], exec, s[16:17]
; %bb.584:                              ;   in Loop: Header=BB18_496 Depth=2
	v_min_i32_e32 v3, 15, v3
	v_lshl_or_b32 v3, v3, 3, v4
	v_and_or_b32 v32, v34, 7, v3
                                        ; implicit-def: $vgpr4
; %bb.585:                              ;   in Loop: Header=BB18_496 Depth=2
	s_andn2_saveexec_b64 s[2:3], s[2:3]
; %bb.586:                              ;   in Loop: Header=BB18_496 Depth=2
	v_pk_mov_b32 v[32:33], v[4:5], v[4:5] op_sel:[0,1]
; %bb.587:                              ;   in Loop: Header=BB18_496 Depth=2
	s_or_b64 exec, exec, s[2:3]
.LBB18_588:                             ;   in Loop: Header=BB18_496 Depth=2
	s_or_b64 exec, exec, s[14:15]
.LBB18_589:                             ;   in Loop: Header=BB18_496 Depth=2
	s_andn2_saveexec_b64 s[2:3], s[12:13]
	s_or_b64 exec, exec, s[2:3]
                                        ; implicit-def: $vgpr3
.LBB18_590:                             ;   in Loop: Header=BB18_496 Depth=2
	s_andn2_saveexec_b64 s[2:3], s[10:11]
; %bb.591:                              ;   in Loop: Header=BB18_496 Depth=2
	v_or_b32_sdwa v3, v3, s40 dst_sel:DWORD dst_unused:UNUSED_PAD src0_sel:BYTE_3 src1_sel:DWORD
	v_cmp_eq_u64_e32 vcc, 0, v[10:11]
	v_cndmask_b32_e32 v32, v3, v32, vcc
; %bb.592:                              ;   in Loop: Header=BB18_496 Depth=2
	s_or_b64 exec, exec, s[2:3]
	v_cvt_f32_f16_e32 v3, v5
	v_mov_b32_e32 v37, v11
	v_div_scale_f32 v4, s[2:3], s33, s33, v3
	v_rcp_f32_e32 v10, v4
	v_div_scale_f32 v25, vcc, v3, s33, v3
	v_fma_f32 v27, -v4, v10, 1.0
	v_fmac_f32_e32 v10, v27, v10
	v_mul_f32_e32 v27, v25, v10
	v_fma_f32 v29, -v4, v27, v25
	v_fmac_f32_e32 v27, v29, v10
	v_fma_f32 v4, -v4, v27, v25
	v_div_fmas_f32 v4, v4, v10, v27
	v_div_fixup_f32 v3, v4, s33, v3
	v_cvt_f16_f32_e32 v3, v3
	v_cvt_f32_f16_e32 v3, v3
	v_and_b32_sdwa v4, v3, s58 dst_sel:DWORD dst_unused:UNUSED_PAD src0_sel:BYTE_3 src1_sel:DWORD
	v_and_b32_e32 v36, 0x7f800000, v3
	v_and_b32_e32 v10, 0x7fffff, v3
	v_or_b32_e32 v34, 0x7e, v4
	v_cmp_ne_u64_e32 vcc, s[62:63], v[36:37]
	s_and_saveexec_b64 s[2:3], vcc
	s_xor_b64 s[10:11], exec, s[2:3]
	s_cbranch_execz .LBB18_606
; %bb.593:                              ;   in Loop: Header=BB18_496 Depth=2
	v_and_b32_e32 v36, 0x7fffffff, v3
	v_mov_b32_e32 v37, v11
	v_cmp_gt_u64_e32 vcc, s[64:65], v[36:37]
	s_and_saveexec_b64 s[2:3], vcc
	s_xor_b64 s[12:13], exec, s[2:3]
	s_cbranch_execz .LBB18_605
; %bb.594:                              ;   in Loop: Header=BB18_496 Depth=2
	v_cmp_ne_u32_e32 vcc, 0, v3
	v_pk_mov_b32 v[34:35], 0, 0
	s_and_saveexec_b64 s[14:15], vcc
	s_cbranch_execz .LBB18_604
; %bb.595:                              ;   in Loop: Header=BB18_496 Depth=2
	v_bfe_u32 v3, v3, 23, 8
	v_sub_u32_e32 v27, 0x79, v3
	v_cmp_gt_u32_e32 vcc, s59, v3
	v_add_u32_e32 v25, 0xffffff81, v3
	v_cndmask_b32_e32 v27, 0, v27, vcc
	v_cmp_eq_u32_e32 vcc, 0, v3
	v_cndmask_b32_e32 v3, v25, v88, vcc
	v_cndmask_b32_e32 v25, v27, v89, vcc
	v_or_b32_e32 v29, 0x800000, v10
	v_add_u32_e32 v27, 20, v25
	v_cndmask_b32_e32 v10, v29, v10, vcc
	v_lshlrev_b64 v[34:35], v27, -1
	v_not_b32_e32 v27, v35
	v_not_b32_e32 v29, v34
	v_lshrrev_b64 v[38:39], v25, v[10:11]
	v_and_b32_e32 v35, 0, v27
	v_and_b32_e32 v34, v10, v29
	v_add_u32_e32 v27, 19, v25
	v_lshrrev_b32_e32 v10, 23, v38
	v_lshlrev_b64 v[36:37], v27, 1
	v_add3_u32 v25, v25, v3, v10
	v_bfe_u32 v3, v38, 20, 1
	v_add_u32_e32 v3, -1, v3
	v_cmp_eq_u64_e32 vcc, v[34:35], v[36:37]
	v_cndmask_b32_e32 v3, 0, v3, vcc
	v_add_u32_e32 v3, v3, v38
	v_and_b32_e32 v3, 0xfffff, v3
	v_add_co_u32_e32 v34, vcc, v3, v38
	v_add_u32_e32 v10, 6, v25
	v_addc_co_u32_e32 v35, vcc, 0, v39, vcc
	v_cmp_ne_u32_e32 vcc, 0, v10
                                        ; implicit-def: $vgpr3
	s_and_saveexec_b64 s[2:3], vcc
	s_xor_b64 s[2:3], exec, s[2:3]
; %bb.596:                              ;   in Loop: Header=BB18_496 Depth=2
	v_add_u32_e32 v3, 7, v25
	v_cmp_lt_u64_e32 vcc, s[66:67], v[34:35]
	v_cndmask_b32_e32 v3, v10, v3, vcc
	v_cndmask_b32_e64 v10, 0, 1, vcc
	v_lshrrev_b64 v[34:35], v10, v[34:35]
; %bb.597:                              ;   in Loop: Header=BB18_496 Depth=2
	s_andn2_saveexec_b64 s[2:3], s[2:3]
; %bb.598:                              ;   in Loop: Header=BB18_496 Depth=2
	v_bfe_u32 v3, v34, 23, 1
; %bb.599:                              ;   in Loop: Header=BB18_496 Depth=2
	s_or_b64 exec, exec, s[2:3]
	v_lshrrev_b64 v[34:35], 20, v[34:35]
	v_cmp_gt_i32_e32 vcc, 16, v3
	v_cndmask_b32_e32 v37, 0, v35, vcc
	v_cndmask_b32_e32 v36, 7, v34, vcc
	v_cmp_ne_u32_e32 vcc, 0, v3
	v_cmp_ne_u64_e64 s[2:3], 0, v[36:37]
	s_or_b64 s[2:3], vcc, s[2:3]
                                        ; implicit-def: $vgpr34_vgpr35
	s_and_saveexec_b64 s[16:17], s[2:3]
	s_xor_b64 s[2:3], exec, s[16:17]
; %bb.600:                              ;   in Loop: Header=BB18_496 Depth=2
	v_min_i32_e32 v3, 15, v3
	v_lshl_or_b32 v3, v3, 3, v4
	v_and_or_b32 v34, v36, 7, v3
                                        ; implicit-def: $vgpr4
; %bb.601:                              ;   in Loop: Header=BB18_496 Depth=2
	s_andn2_saveexec_b64 s[2:3], s[2:3]
; %bb.602:                              ;   in Loop: Header=BB18_496 Depth=2
	v_pk_mov_b32 v[34:35], v[4:5], v[4:5] op_sel:[0,1]
; %bb.603:                              ;   in Loop: Header=BB18_496 Depth=2
	s_or_b64 exec, exec, s[2:3]
.LBB18_604:                             ;   in Loop: Header=BB18_496 Depth=2
	s_or_b64 exec, exec, s[14:15]
.LBB18_605:                             ;   in Loop: Header=BB18_496 Depth=2
	s_andn2_saveexec_b64 s[2:3], s[12:13]
	s_or_b64 exec, exec, s[2:3]
                                        ; implicit-def: $vgpr3
.LBB18_606:                             ;   in Loop: Header=BB18_496 Depth=2
	s_andn2_saveexec_b64 s[2:3], s[10:11]
; %bb.607:                              ;   in Loop: Header=BB18_496 Depth=2
	v_or_b32_sdwa v3, v3, s40 dst_sel:DWORD dst_unused:UNUSED_PAD src0_sel:BYTE_3 src1_sel:DWORD
	v_cmp_eq_u64_e32 vcc, 0, v[10:11]
	v_cndmask_b32_e32 v34, v3, v34, vcc
; %bb.608:                              ;   in Loop: Header=BB18_496 Depth=2
	s_or_b64 exec, exec, s[2:3]
	v_cvt_f32_f16_sdwa v3, v5 dst_sel:DWORD dst_unused:UNUSED_PAD src0_sel:WORD_1
	v_mov_b32_e32 v39, v11
	v_div_scale_f32 v4, s[2:3], s33, s33, v3
	v_rcp_f32_e32 v5, v4
	v_div_scale_f32 v10, vcc, v3, s33, v3
	v_fma_f32 v25, -v4, v5, 1.0
	v_fmac_f32_e32 v5, v25, v5
	v_mul_f32_e32 v25, v10, v5
	v_fma_f32 v27, -v4, v25, v10
	v_fmac_f32_e32 v25, v27, v5
	v_fma_f32 v4, -v4, v25, v10
	v_div_fmas_f32 v4, v4, v5, v25
	v_div_fixup_f32 v3, v4, s33, v3
	v_cvt_f16_f32_e32 v3, v3
	v_cvt_f32_f16_e32 v3, v3
	v_and_b32_sdwa v4, v3, s58 dst_sel:DWORD dst_unused:UNUSED_PAD src0_sel:BYTE_3 src1_sel:DWORD
	v_and_b32_e32 v38, 0x7f800000, v3
	v_and_b32_e32 v10, 0x7fffff, v3
	v_or_b32_e32 v36, 0x7e, v4
	v_cmp_ne_u64_e32 vcc, s[62:63], v[38:39]
	s_and_saveexec_b64 s[2:3], vcc
	s_xor_b64 s[10:11], exec, s[2:3]
	s_cbranch_execz .LBB18_622
; %bb.609:                              ;   in Loop: Header=BB18_496 Depth=2
	v_and_b32_e32 v38, 0x7fffffff, v3
	v_mov_b32_e32 v39, v11
	v_cmp_gt_u64_e32 vcc, s[64:65], v[38:39]
	s_and_saveexec_b64 s[2:3], vcc
	s_xor_b64 s[12:13], exec, s[2:3]
	s_cbranch_execz .LBB18_621
; %bb.610:                              ;   in Loop: Header=BB18_496 Depth=2
	v_cmp_ne_u32_e32 vcc, 0, v3
	v_pk_mov_b32 v[36:37], 0, 0
	s_and_saveexec_b64 s[14:15], vcc
	s_cbranch_execz .LBB18_620
; %bb.611:                              ;   in Loop: Header=BB18_496 Depth=2
	v_bfe_u32 v3, v3, 23, 8
	v_sub_u32_e32 v25, 0x79, v3
	v_cmp_gt_u32_e32 vcc, s59, v3
	v_add_u32_e32 v5, 0xffffff81, v3
	v_cndmask_b32_e32 v25, 0, v25, vcc
	v_cmp_eq_u32_e32 vcc, 0, v3
	v_cndmask_b32_e32 v3, v5, v88, vcc
	v_cndmask_b32_e32 v5, v25, v89, vcc
	v_or_b32_e32 v27, 0x800000, v10
	v_add_u32_e32 v25, 20, v5
	v_cndmask_b32_e32 v10, v27, v10, vcc
	v_lshlrev_b64 v[36:37], v25, -1
	v_not_b32_e32 v25, v37
	v_not_b32_e32 v27, v36
	v_lshrrev_b64 v[40:41], v5, v[10:11]
	v_and_b32_e32 v37, 0, v25
	v_and_b32_e32 v36, v10, v27
	v_add_u32_e32 v25, 19, v5
	v_lshrrev_b32_e32 v10, 23, v40
	v_lshlrev_b64 v[38:39], v25, 1
	v_add3_u32 v10, v5, v3, v10
	v_bfe_u32 v3, v40, 20, 1
	v_add_u32_e32 v3, -1, v3
	v_cmp_eq_u64_e32 vcc, v[36:37], v[38:39]
	v_cndmask_b32_e32 v3, 0, v3, vcc
	v_add_u32_e32 v3, v3, v40
	v_and_b32_e32 v3, 0xfffff, v3
	v_add_co_u32_e32 v36, vcc, v3, v40
	v_add_u32_e32 v5, 6, v10
	v_addc_co_u32_e32 v37, vcc, 0, v41, vcc
	v_cmp_ne_u32_e32 vcc, 0, v5
                                        ; implicit-def: $vgpr3
	s_and_saveexec_b64 s[2:3], vcc
	s_xor_b64 s[2:3], exec, s[2:3]
; %bb.612:                              ;   in Loop: Header=BB18_496 Depth=2
	v_add_u32_e32 v3, 7, v10
	v_cmp_lt_u64_e32 vcc, s[66:67], v[36:37]
	v_cndmask_b32_e32 v3, v5, v3, vcc
	v_cndmask_b32_e64 v5, 0, 1, vcc
	v_lshrrev_b64 v[36:37], v5, v[36:37]
; %bb.613:                              ;   in Loop: Header=BB18_496 Depth=2
	s_andn2_saveexec_b64 s[2:3], s[2:3]
; %bb.614:                              ;   in Loop: Header=BB18_496 Depth=2
	v_bfe_u32 v3, v36, 23, 1
; %bb.615:                              ;   in Loop: Header=BB18_496 Depth=2
	s_or_b64 exec, exec, s[2:3]
	v_lshrrev_b64 v[36:37], 20, v[36:37]
	v_cmp_gt_i32_e32 vcc, 16, v3
	v_cndmask_b32_e32 v39, 0, v37, vcc
	v_cndmask_b32_e32 v38, 7, v36, vcc
	v_cmp_ne_u32_e32 vcc, 0, v3
	v_cmp_ne_u64_e64 s[2:3], 0, v[38:39]
	s_or_b64 s[2:3], vcc, s[2:3]
                                        ; implicit-def: $vgpr36_vgpr37
	s_and_saveexec_b64 s[16:17], s[2:3]
	s_xor_b64 s[2:3], exec, s[16:17]
; %bb.616:                              ;   in Loop: Header=BB18_496 Depth=2
	v_min_i32_e32 v3, 15, v3
	v_lshl_or_b32 v3, v3, 3, v4
	v_and_or_b32 v36, v38, 7, v3
                                        ; implicit-def: $vgpr4
; %bb.617:                              ;   in Loop: Header=BB18_496 Depth=2
	s_andn2_saveexec_b64 s[2:3], s[2:3]
; %bb.618:                              ;   in Loop: Header=BB18_496 Depth=2
	v_pk_mov_b32 v[36:37], v[4:5], v[4:5] op_sel:[0,1]
; %bb.619:                              ;   in Loop: Header=BB18_496 Depth=2
	s_or_b64 exec, exec, s[2:3]
.LBB18_620:                             ;   in Loop: Header=BB18_496 Depth=2
	s_or_b64 exec, exec, s[14:15]
.LBB18_621:                             ;   in Loop: Header=BB18_496 Depth=2
	s_andn2_saveexec_b64 s[2:3], s[12:13]
	s_or_b64 exec, exec, s[2:3]
                                        ; implicit-def: $vgpr3
.LBB18_622:                             ;   in Loop: Header=BB18_496 Depth=2
	s_andn2_saveexec_b64 s[2:3], s[10:11]
	s_cbranch_execz .LBB18_495
; %bb.623:                              ;   in Loop: Header=BB18_496 Depth=2
	v_or_b32_sdwa v3, v3, s40 dst_sel:DWORD dst_unused:UNUSED_PAD src0_sel:BYTE_3 src1_sel:DWORD
	v_cmp_eq_u64_e32 vcc, 0, v[10:11]
	v_cndmask_b32_e32 v36, v3, v36, vcc
	s_branch .LBB18_495
.LBB18_624:
	v_readlane_b32 s0, v99, 19
	v_readlane_b32 s1, v99, 20
	s_or_b64 exec, exec, s[0:1]
	v_readlane_b32 s60, v99, 3
	v_readlane_b32 s88, v99, 17
	;; [unrolled: 1-line block ×3, first 2 shown]
	s_mov_b64 s[0:1], 0
	v_readlane_b32 s61, v99, 4
	v_readlane_b32 s62, v99, 5
	;; [unrolled: 1-line block ×13, first 2 shown]
.LBB18_625:
	s_andn2_b64 vcc, exec, s[0:1]
	s_cbranch_vccnz .LBB18_1244
; %bb.626:
	s_and_b32 s0, s80, 15
	s_mov_b32 s1, 0
	s_mul_i32 s42, s57, s56
	s_cmp_lg_u64 s[0:1], 0
	s_cselect_b64 s[0:1], -1, 0
	s_and_b32 s2, s42, 7
	s_cmp_eq_u32 s2, 0
	s_cselect_b64 s[36:37], -1, 0
	s_cmp_lg_u32 s2, 0
	s_cselect_b64 s[2:3], -1, 0
	s_or_b64 s[2:3], s[0:1], s[2:3]
	s_mov_b64 s[0:1], -1
	s_and_b64 vcc, exec, s[2:3]
	s_cbranch_vccz .LBB18_803
; %bb.627:
	s_sub_i32 s0, 0, s80
	s_bfe_u32 s0, s0, 0x30001
	s_min_i32 s50, s0, s42
	v_cmp_gt_i32_e32 vcc, s50, v0
	s_and_saveexec_b64 s[2:3], vcc
	s_cbranch_execz .LBB18_647
; %bb.628:
	s_add_u32 s0, s60, s34
	v_mov_b32_e32 v3, 0
	v_lshlrev_b32_e32 v2, 1, v0
	s_addc_u32 s1, s61, s35
	s_mov_b32 s18, 0
	v_mov_b32_e32 v1, v3
	v_mov_b32_e32 v5, s1
	v_add_co_u32_e32 v4, vcc, s0, v2
	v_addc_co_u32_e32 v5, vcc, 0, v5, vcc
	s_lshl_b32 s19, s86, 1
	s_mov_b32 s20, s18
	s_mov_b64 s[4:5], 0
	s_movk_i32 s21, 0x80
	s_mov_b64 s[6:7], 0x7f800000
	s_mov_b64 s[8:9], 0x43e00001
	s_movk_i32 s22, 0x7a
	s_mov_b64 s[10:11], 0xffffff
	s_movk_i32 s23, 0x7f
	v_mov_b32_e32 v10, 0xffffff82
	v_mov_b32_e32 v11, 0x78
	v_pk_mov_b32 v[6:7], v[0:1], v[0:1] op_sel:[0,1]
	s_branch .LBB18_630
.LBB18_629:                             ;   in Loop: Header=BB18_630 Depth=1
	s_or_b64 exec, exec, s[0:1]
	v_mov_b32_e32 v1, s55
	v_add_co_u32_e32 v12, vcc, s43, v6
	v_addc_co_u32_e32 v13, vcc, v1, v7, vcc
	v_mov_b32_e32 v1, s18
	v_add_co_u32_e32 v6, vcc, s86, v6
	v_addc_co_u32_e32 v7, vcc, v7, v1, vcc
	v_cmp_le_i32_e32 vcc, s50, v6
	v_mov_b32_e32 v1, s20
	s_or_b64 s[4:5], vcc, s[4:5]
	v_add_co_u32_e32 v4, vcc, s19, v4
	v_addc_co_u32_e32 v5, vcc, v5, v1, vcc
	global_store_byte v[12:13], v9, off
	s_andn2_b64 exec, exec, s[4:5]
	s_cbranch_execz .LBB18_647
.LBB18_630:                             ; =>This Inner Loop Header: Depth=1
	global_load_ushort v1, v[4:5], off
	s_waitcnt vmcnt(0)
	v_cvt_f32_f16_e32 v1, v1
	v_div_scale_f32 v2, s[0:1], s95, s95, v1
	v_rcp_f32_e32 v8, v2
	v_div_scale_f32 v9, vcc, v1, s95, v1
	v_fma_f32 v12, -v2, v8, 1.0
	v_fmac_f32_e32 v8, v12, v8
	v_mul_f32_e32 v12, v9, v8
	v_fma_f32 v13, -v2, v12, v9
	v_fmac_f32_e32 v12, v13, v8
	v_fma_f32 v2, -v2, v12, v9
	v_div_fmas_f32 v2, v2, v8, v12
	v_div_fixup_f32 v1, v2, s95, v1
	v_cvt_f16_f32_e32 v1, v1
	v_mov_b32_e32 v13, v3
	v_cvt_f32_f16_e32 v8, v1
	v_and_b32_sdwa v1, v8, s21 dst_sel:DWORD dst_unused:UNUSED_PAD src0_sel:BYTE_3 src1_sel:DWORD
	v_and_b32_e32 v12, 0x7f800000, v8
	v_and_b32_e32 v2, 0x7fffff, v8
	v_or_b32_e32 v9, 0x7e, v1
	v_cmp_ne_u64_e32 vcc, s[6:7], v[12:13]
	s_and_saveexec_b64 s[0:1], vcc
	s_xor_b64 s[12:13], exec, s[0:1]
	s_cbranch_execz .LBB18_644
; %bb.631:                              ;   in Loop: Header=BB18_630 Depth=1
	v_and_b32_e32 v12, 0x7fffffff, v8
	v_mov_b32_e32 v13, v3
	v_cmp_gt_u64_e32 vcc, s[8:9], v[12:13]
	s_and_saveexec_b64 s[0:1], vcc
	s_xor_b64 s[14:15], exec, s[0:1]
	s_cbranch_execz .LBB18_643
; %bb.632:                              ;   in Loop: Header=BB18_630 Depth=1
	v_cmp_ne_u32_e32 vcc, 0, v8
	v_mov_b32_e32 v9, 0
	s_and_saveexec_b64 s[16:17], vcc
	s_cbranch_execz .LBB18_642
; %bb.633:                              ;   in Loop: Header=BB18_630 Depth=1
	v_bfe_u32 v8, v8, 23, 8
	v_sub_u32_e32 v12, 0x79, v8
	v_cmp_gt_u32_e32 vcc, s22, v8
	v_cndmask_b32_e32 v12, 0, v12, vcc
	v_cmp_eq_u32_e32 vcc, 0, v8
	v_cndmask_b32_e32 v12, v12, v11, vcc
	v_add_u32_e32 v9, 0xffffff81, v8
	v_or_b32_e32 v13, 0x800000, v2
	v_add_u32_e32 v8, 20, v12
	v_cndmask_b32_e32 v18, v9, v10, vcc
	v_cndmask_b32_e32 v2, v13, v2, vcc
	v_lshlrev_b64 v[8:9], v8, -1
	v_not_b32_e32 v8, v8
	v_lshrrev_b64 v[16:17], v12, v[2:3]
	v_not_b32_e32 v9, v9
	v_and_b32_e32 v8, v2, v8
	v_add_u32_e32 v13, 19, v12
	v_lshrrev_b32_e32 v2, 23, v16
	v_and_b32_e32 v9, 0, v9
	v_lshlrev_b64 v[14:15], v13, 1
	v_add3_u32 v13, v12, v18, v2
	v_bfe_u32 v2, v16, 20, 1
	v_add_u32_e32 v2, -1, v2
	v_cmp_eq_u64_e32 vcc, v[8:9], v[14:15]
	v_cndmask_b32_e32 v2, 0, v2, vcc
	v_add_u32_e32 v2, v2, v16
	v_and_b32_e32 v2, 0xfffff, v2
	v_add_co_u32_e32 v8, vcc, v2, v16
	v_add_u32_e32 v12, 6, v13
	v_addc_co_u32_e32 v9, vcc, 0, v17, vcc
	v_cmp_ne_u32_e32 vcc, 0, v12
                                        ; implicit-def: $vgpr2
	s_and_saveexec_b64 s[0:1], vcc
	s_xor_b64 s[0:1], exec, s[0:1]
; %bb.634:                              ;   in Loop: Header=BB18_630 Depth=1
	v_add_u32_e32 v2, 7, v13
	v_cmp_lt_u64_e32 vcc, s[10:11], v[8:9]
	v_cndmask_b32_e32 v2, v12, v2, vcc
	v_cndmask_b32_e64 v12, 0, 1, vcc
	v_lshrrev_b64 v[8:9], v12, v[8:9]
; %bb.635:                              ;   in Loop: Header=BB18_630 Depth=1
	s_andn2_saveexec_b64 s[0:1], s[0:1]
; %bb.636:                              ;   in Loop: Header=BB18_630 Depth=1
	v_bfe_u32 v2, v8, 23, 1
; %bb.637:                              ;   in Loop: Header=BB18_630 Depth=1
	s_or_b64 exec, exec, s[0:1]
	v_lshrrev_b64 v[8:9], 20, v[8:9]
	v_cmp_gt_i32_e32 vcc, 16, v2
	v_cndmask_b32_e32 v9, 0, v9, vcc
	v_cndmask_b32_e32 v8, 7, v8, vcc
	v_cmp_ne_u32_e32 vcc, 0, v2
	v_cmp_ne_u64_e64 s[0:1], 0, v[8:9]
	s_or_b64 s[0:1], vcc, s[0:1]
                                        ; implicit-def: $vgpr9
	s_and_saveexec_b64 s[24:25], s[0:1]
	s_xor_b64 s[0:1], exec, s[24:25]
; %bb.638:                              ;   in Loop: Header=BB18_630 Depth=1
	v_min_i32_e32 v2, 15, v2
	v_lshl_or_b32 v1, v2, 3, v1
	v_and_or_b32 v9, v8, 7, v1
                                        ; implicit-def: $vgpr1
; %bb.639:                              ;   in Loop: Header=BB18_630 Depth=1
	s_andn2_saveexec_b64 s[0:1], s[0:1]
; %bb.640:                              ;   in Loop: Header=BB18_630 Depth=1
	v_mov_b32_e32 v9, v1
; %bb.641:                              ;   in Loop: Header=BB18_630 Depth=1
	s_or_b64 exec, exec, s[0:1]
.LBB18_642:                             ;   in Loop: Header=BB18_630 Depth=1
	s_or_b64 exec, exec, s[16:17]
.LBB18_643:                             ;   in Loop: Header=BB18_630 Depth=1
	s_andn2_saveexec_b64 s[0:1], s[14:15]
	s_or_b64 exec, exec, s[0:1]
                                        ; implicit-def: $vgpr8
.LBB18_644:                             ;   in Loop: Header=BB18_630 Depth=1
	s_andn2_saveexec_b64 s[0:1], s[12:13]
	s_cbranch_execz .LBB18_629
; %bb.645:                              ;   in Loop: Header=BB18_630 Depth=1
	v_or_b32_sdwa v1, v8, s23 dst_sel:DWORD dst_unused:UNUSED_PAD src0_sel:BYTE_3 src1_sel:DWORD
	v_cmp_eq_u64_e32 vcc, 0, v[2:3]
	v_cndmask_b32_e32 v9, v1, v9, vcc
	s_branch .LBB18_629
.LBB18_646:
                                        ; implicit-def: $sgpr10_sgpr11
	s_branch .LBB18_3
.LBB18_647:
	s_or_b64 exec, exec, s[2:3]
	s_sub_i32 s40, s42, s50
	s_ashr_i32 s0, s40, 31
	s_lshr_b32 s0, s0, 29
	s_add_i32 s0, s40, s0
	s_ashr_i32 s18, s0, 3
	s_ashr_i32 s51, s50, 31
	v_cmp_gt_i32_e32 vcc, s18, v0
	s_and_saveexec_b64 s[2:3], vcc
	s_cbranch_execz .LBB18_778
; %bb.648:
	s_add_u32 s0, s50, s90
	s_addc_u32 s1, s51, s87
	s_add_u32 s0, s0, s59
	s_addc_u32 s1, s1, s58
	s_add_u32 s0, s64, s0
	v_lshlrev_b32_e32 v1, 3, v0
	s_addc_u32 s1, s65, s1
	v_mov_b32_e32 v2, s1
	v_add_co_u32_e32 v6, vcc, s0, v1
	s_lshl_b32 s20, s86, 3
	s_lshl_b64 s[0:1], s[50:51], 1
	s_add_u32 s0, s60, s0
	s_addc_u32 s1, s61, s1
	s_add_u32 s0, s0, s34
	v_addc_co_u32_e32 v7, vcc, 0, v2, vcc
	v_lshlrev_b32_e32 v1, 4, v0
	s_addc_u32 s1, s1, s35
	s_mov_b32 s19, 0
	v_mov_b32_e32 v2, s1
	v_add_co_u32_e32 v8, vcc, s0, v1
	v_addc_co_u32_e32 v9, vcc, 0, v2, vcc
	s_lshl_b32 s21, s86, 4
	s_mov_b32 s22, s19
	s_mov_b64 s[4:5], 0
	v_mov_b32_e32 v11, 0
	s_movk_i32 s23, 0x80
	s_mov_b64 s[6:7], 0x7f800000
	s_mov_b64 s[8:9], 0x43e00001
	s_movk_i32 s24, 0x7a
	s_mov_b64 s[10:11], 0xffffff
	s_movk_i32 s25, 0x7f
	s_mov_b32 s26, 0xff00
	s_mov_b32 s27, 0x4020c0c
	v_mov_b32_e32 v1, 0xffffff82
	v_mov_b32_e32 v28, 0x78
	;; [unrolled: 1-line block ×3, first 2 shown]
	s_branch .LBB18_650
.LBB18_649:                             ;   in Loop: Header=BB18_650 Depth=1
	s_or_b64 exec, exec, s[0:1]
	v_lshlrev_b32_e32 v4, 16, v22
	v_lshlrev_b32_e32 v3, 24, v24
	v_and_b32_e32 v4, 0xff0000, v4
	v_or_b32_e32 v3, v3, v4
	v_lshlrev_b32_e32 v4, 8, v20
	v_and_b32_e32 v4, 0xff00, v4
	v_and_b32_e32 v5, 0xff, v18
	v_or3_b32 v3, v3, v4, v5
	v_lshlrev_b32_e32 v4, 16, v16
	v_lshlrev_b32_e32 v5, 8, v14
	v_perm_b32 v2, v2, v4, s27
	v_and_or_b32 v2, v5, s26, v2
	v_or_b32_sdwa v2, v2, v12 dst_sel:DWORD dst_unused:UNUSED_PAD src0_sel:DWORD src1_sel:BYTE_0
	global_store_dwordx2 v[6:7], v[2:3], off
	v_mov_b32_e32 v2, s19
	v_add_co_u32_e32 v6, vcc, s20, v6
	v_add_u32_e32 v29, s86, v29
	v_addc_co_u32_e32 v7, vcc, v7, v2, vcc
	v_cmp_le_i32_e32 vcc, s18, v29
	v_mov_b32_e32 v2, s22
	s_or_b64 s[4:5], vcc, s[4:5]
	v_add_co_u32_e32 v8, vcc, s21, v8
	v_addc_co_u32_e32 v9, vcc, v9, v2, vcc
	s_andn2_b64 exec, exec, s[4:5]
	s_cbranch_execz .LBB18_778
.LBB18_650:                             ; =>This Inner Loop Header: Depth=1
	global_load_dwordx4 v[2:5], v[8:9], off
	v_mov_b32_e32 v17, v11
	s_waitcnt vmcnt(0)
	v_cvt_f32_f16_e32 v10, v2
	v_div_scale_f32 v12, s[0:1], s95, s95, v10
	v_rcp_f32_e32 v13, v12
	v_div_scale_f32 v14, vcc, v10, s95, v10
	v_fma_f32 v15, -v12, v13, 1.0
	v_fmac_f32_e32 v13, v15, v13
	v_mul_f32_e32 v15, v14, v13
	v_fma_f32 v16, -v12, v15, v14
	v_fmac_f32_e32 v15, v16, v13
	v_fma_f32 v12, -v12, v15, v14
	v_div_fmas_f32 v12, v12, v13, v15
	v_div_fixup_f32 v10, v12, s95, v10
	v_cvt_f16_f32_e32 v10, v10
	v_cvt_f32_f16_e32 v15, v10
	v_and_b32_sdwa v14, v15, s23 dst_sel:DWORD dst_unused:UNUSED_PAD src0_sel:BYTE_3 src1_sel:DWORD
	v_and_b32_e32 v16, 0x7f800000, v15
	v_and_b32_e32 v10, 0x7fffff, v15
	v_or_b32_e32 v12, 0x7e, v14
	v_cmp_ne_u64_e32 vcc, s[6:7], v[16:17]
	s_and_saveexec_b64 s[0:1], vcc
	s_xor_b64 s[12:13], exec, s[0:1]
	s_cbranch_execz .LBB18_664
; %bb.651:                              ;   in Loop: Header=BB18_650 Depth=1
	v_and_b32_e32 v16, 0x7fffffff, v15
	v_mov_b32_e32 v17, v11
	v_cmp_gt_u64_e32 vcc, s[8:9], v[16:17]
	s_and_saveexec_b64 s[0:1], vcc
	s_xor_b64 s[14:15], exec, s[0:1]
	s_cbranch_execz .LBB18_663
; %bb.652:                              ;   in Loop: Header=BB18_650 Depth=1
	v_cmp_ne_u32_e32 vcc, 0, v15
	v_pk_mov_b32 v[12:13], 0, 0
	s_and_saveexec_b64 s[16:17], vcc
	s_cbranch_execz .LBB18_662
; %bb.653:                              ;   in Loop: Header=BB18_650 Depth=1
	v_bfe_u32 v12, v15, 23, 8
	v_sub_u32_e32 v15, 0x79, v12
	v_cmp_gt_u32_e32 vcc, s24, v12
	v_cndmask_b32_e32 v15, 0, v15, vcc
	v_cmp_eq_u32_e32 vcc, 0, v12
	v_cndmask_b32_e32 v15, v15, v28, vcc
	v_add_u32_e32 v13, 0xffffff81, v12
	v_or_b32_e32 v16, 0x800000, v10
	v_add_u32_e32 v12, 20, v15
	v_cndmask_b32_e32 v17, v13, v1, vcc
	v_cndmask_b32_e32 v10, v16, v10, vcc
	v_lshlrev_b64 v[12:13], v12, -1
	v_not_b32_e32 v12, v12
	v_lshrrev_b64 v[20:21], v15, v[10:11]
	v_not_b32_e32 v13, v13
	v_and_b32_e32 v12, v10, v12
	v_add_u32_e32 v16, 19, v15
	v_lshrrev_b32_e32 v10, 23, v20
	v_and_b32_e32 v13, 0, v13
	v_lshlrev_b64 v[18:19], v16, 1
	v_add3_u32 v16, v15, v17, v10
	v_bfe_u32 v10, v20, 20, 1
	v_add_u32_e32 v10, -1, v10
	v_cmp_eq_u64_e32 vcc, v[12:13], v[18:19]
	v_cndmask_b32_e32 v10, 0, v10, vcc
	v_add_u32_e32 v10, v10, v20
	v_and_b32_e32 v10, 0xfffff, v10
	v_add_co_u32_e32 v12, vcc, v10, v20
	v_add_u32_e32 v15, 6, v16
	v_addc_co_u32_e32 v13, vcc, 0, v21, vcc
	v_cmp_ne_u32_e32 vcc, 0, v15
                                        ; implicit-def: $vgpr10
	s_and_saveexec_b64 s[0:1], vcc
	s_xor_b64 s[0:1], exec, s[0:1]
; %bb.654:                              ;   in Loop: Header=BB18_650 Depth=1
	v_add_u32_e32 v10, 7, v16
	v_cmp_lt_u64_e32 vcc, s[10:11], v[12:13]
	v_cndmask_b32_e32 v10, v15, v10, vcc
	v_cndmask_b32_e64 v15, 0, 1, vcc
	v_lshrrev_b64 v[12:13], v15, v[12:13]
; %bb.655:                              ;   in Loop: Header=BB18_650 Depth=1
	s_andn2_saveexec_b64 s[0:1], s[0:1]
; %bb.656:                              ;   in Loop: Header=BB18_650 Depth=1
	v_bfe_u32 v10, v12, 23, 1
; %bb.657:                              ;   in Loop: Header=BB18_650 Depth=1
	s_or_b64 exec, exec, s[0:1]
	v_lshrrev_b64 v[12:13], 20, v[12:13]
	v_cmp_gt_i32_e32 vcc, 16, v10
	v_cndmask_b32_e32 v17, 0, v13, vcc
	v_cndmask_b32_e32 v16, 7, v12, vcc
	v_cmp_ne_u32_e32 vcc, 0, v10
	v_cmp_ne_u64_e64 s[0:1], 0, v[16:17]
	s_or_b64 s[0:1], vcc, s[0:1]
                                        ; implicit-def: $vgpr12_vgpr13
	s_and_saveexec_b64 s[28:29], s[0:1]
	s_xor_b64 s[0:1], exec, s[28:29]
; %bb.658:                              ;   in Loop: Header=BB18_650 Depth=1
	v_min_i32_e32 v10, 15, v10
	v_lshl_or_b32 v10, v10, 3, v14
	v_and_or_b32 v12, v16, 7, v10
                                        ; implicit-def: $vgpr14
; %bb.659:                              ;   in Loop: Header=BB18_650 Depth=1
	s_andn2_saveexec_b64 s[0:1], s[0:1]
; %bb.660:                              ;   in Loop: Header=BB18_650 Depth=1
	v_pk_mov_b32 v[12:13], v[14:15], v[14:15] op_sel:[0,1]
; %bb.661:                              ;   in Loop: Header=BB18_650 Depth=1
	s_or_b64 exec, exec, s[0:1]
.LBB18_662:                             ;   in Loop: Header=BB18_650 Depth=1
	s_or_b64 exec, exec, s[16:17]
.LBB18_663:                             ;   in Loop: Header=BB18_650 Depth=1
	s_andn2_saveexec_b64 s[0:1], s[14:15]
	s_or_b64 exec, exec, s[0:1]
                                        ; implicit-def: $vgpr15
.LBB18_664:                             ;   in Loop: Header=BB18_650 Depth=1
	s_andn2_saveexec_b64 s[0:1], s[12:13]
; %bb.665:                              ;   in Loop: Header=BB18_650 Depth=1
	v_or_b32_sdwa v13, v15, s25 dst_sel:DWORD dst_unused:UNUSED_PAD src0_sel:BYTE_3 src1_sel:DWORD
	v_cmp_eq_u64_e32 vcc, 0, v[10:11]
	v_cndmask_b32_e32 v12, v13, v12, vcc
; %bb.666:                              ;   in Loop: Header=BB18_650 Depth=1
	s_or_b64 exec, exec, s[0:1]
	v_cvt_f32_f16_sdwa v2, v2 dst_sel:DWORD dst_unused:UNUSED_PAD src0_sel:WORD_1
	v_mov_b32_e32 v17, v11
	v_div_scale_f32 v10, s[0:1], s95, s95, v2
	v_rcp_f32_e32 v13, v10
	v_div_scale_f32 v14, vcc, v2, s95, v2
	v_fma_f32 v15, -v10, v13, 1.0
	v_fmac_f32_e32 v13, v15, v13
	v_mul_f32_e32 v15, v14, v13
	v_fma_f32 v16, -v10, v15, v14
	v_fmac_f32_e32 v15, v16, v13
	v_fma_f32 v10, -v10, v15, v14
	v_div_fmas_f32 v10, v10, v13, v15
	v_div_fixup_f32 v2, v10, s95, v2
	v_cvt_f16_f32_e32 v2, v2
	v_cvt_f32_f16_e32 v13, v2
	v_and_b32_sdwa v2, v13, s23 dst_sel:DWORD dst_unused:UNUSED_PAD src0_sel:BYTE_3 src1_sel:DWORD
	v_and_b32_e32 v16, 0x7f800000, v13
	v_and_b32_e32 v10, 0x7fffff, v13
	v_or_b32_e32 v14, 0x7e, v2
	v_cmp_ne_u64_e32 vcc, s[6:7], v[16:17]
	s_and_saveexec_b64 s[0:1], vcc
	s_xor_b64 s[12:13], exec, s[0:1]
	s_cbranch_execz .LBB18_680
; %bb.667:                              ;   in Loop: Header=BB18_650 Depth=1
	v_and_b32_e32 v16, 0x7fffffff, v13
	v_mov_b32_e32 v17, v11
	v_cmp_gt_u64_e32 vcc, s[8:9], v[16:17]
	s_and_saveexec_b64 s[0:1], vcc
	s_xor_b64 s[14:15], exec, s[0:1]
	s_cbranch_execz .LBB18_679
; %bb.668:                              ;   in Loop: Header=BB18_650 Depth=1
	v_cmp_ne_u32_e32 vcc, 0, v13
	v_pk_mov_b32 v[14:15], 0, 0
	s_and_saveexec_b64 s[16:17], vcc
	s_cbranch_execz .LBB18_678
; %bb.669:                              ;   in Loop: Header=BB18_650 Depth=1
	v_bfe_u32 v13, v13, 23, 8
	v_sub_u32_e32 v15, 0x79, v13
	v_cmp_gt_u32_e32 vcc, s24, v13
	v_cndmask_b32_e32 v15, 0, v15, vcc
	v_cmp_eq_u32_e32 vcc, 0, v13
	v_add_u32_e32 v14, 0xffffff81, v13
	v_cndmask_b32_e32 v17, v15, v28, vcc
	v_or_b32_e32 v16, 0x800000, v10
	v_cndmask_b32_e32 v13, v14, v1, vcc
	v_add_u32_e32 v14, 20, v17
	v_cndmask_b32_e32 v10, v16, v10, vcc
	v_lshlrev_b64 v[14:15], v14, -1
	v_not_b32_e32 v14, v14
	v_lshrrev_b64 v[20:21], v17, v[10:11]
	v_not_b32_e32 v15, v15
	v_and_b32_e32 v14, v10, v14
	v_add_u32_e32 v16, 19, v17
	v_lshrrev_b32_e32 v10, 23, v20
	v_and_b32_e32 v15, 0, v15
	v_lshlrev_b64 v[18:19], v16, 1
	v_add3_u32 v16, v17, v13, v10
	v_bfe_u32 v10, v20, 20, 1
	v_add_u32_e32 v10, -1, v10
	v_cmp_eq_u64_e32 vcc, v[14:15], v[18:19]
	v_cndmask_b32_e32 v10, 0, v10, vcc
	v_add_u32_e32 v10, v10, v20
	v_and_b32_e32 v10, 0xfffff, v10
	v_add_co_u32_e32 v14, vcc, v10, v20
	v_add_u32_e32 v13, 6, v16
	v_addc_co_u32_e32 v15, vcc, 0, v21, vcc
	v_cmp_ne_u32_e32 vcc, 0, v13
                                        ; implicit-def: $vgpr10
	s_and_saveexec_b64 s[0:1], vcc
	s_xor_b64 s[0:1], exec, s[0:1]
; %bb.670:                              ;   in Loop: Header=BB18_650 Depth=1
	v_add_u32_e32 v10, 7, v16
	v_cmp_lt_u64_e32 vcc, s[10:11], v[14:15]
	v_cndmask_b32_e32 v10, v13, v10, vcc
	v_cndmask_b32_e64 v13, 0, 1, vcc
	v_lshrrev_b64 v[14:15], v13, v[14:15]
; %bb.671:                              ;   in Loop: Header=BB18_650 Depth=1
	s_andn2_saveexec_b64 s[0:1], s[0:1]
; %bb.672:                              ;   in Loop: Header=BB18_650 Depth=1
	v_bfe_u32 v10, v14, 23, 1
; %bb.673:                              ;   in Loop: Header=BB18_650 Depth=1
	s_or_b64 exec, exec, s[0:1]
	v_lshrrev_b64 v[14:15], 20, v[14:15]
	v_cmp_gt_i32_e32 vcc, 16, v10
	v_cndmask_b32_e32 v17, 0, v15, vcc
	v_cndmask_b32_e32 v16, 7, v14, vcc
	v_cmp_ne_u32_e32 vcc, 0, v10
	v_cmp_ne_u64_e64 s[0:1], 0, v[16:17]
	s_or_b64 s[0:1], vcc, s[0:1]
                                        ; implicit-def: $vgpr14_vgpr15
	s_and_saveexec_b64 s[28:29], s[0:1]
	s_xor_b64 s[0:1], exec, s[28:29]
; %bb.674:                              ;   in Loop: Header=BB18_650 Depth=1
	v_min_i32_e32 v10, 15, v10
	v_lshl_or_b32 v2, v10, 3, v2
	v_and_or_b32 v14, v16, 7, v2
                                        ; implicit-def: $vgpr2
; %bb.675:                              ;   in Loop: Header=BB18_650 Depth=1
	s_andn2_saveexec_b64 s[0:1], s[0:1]
; %bb.676:                              ;   in Loop: Header=BB18_650 Depth=1
	v_pk_mov_b32 v[14:15], v[2:3], v[2:3] op_sel:[0,1]
; %bb.677:                              ;   in Loop: Header=BB18_650 Depth=1
	s_or_b64 exec, exec, s[0:1]
.LBB18_678:                             ;   in Loop: Header=BB18_650 Depth=1
	s_or_b64 exec, exec, s[16:17]
.LBB18_679:                             ;   in Loop: Header=BB18_650 Depth=1
	s_andn2_saveexec_b64 s[0:1], s[14:15]
	s_or_b64 exec, exec, s[0:1]
                                        ; implicit-def: $vgpr13
.LBB18_680:                             ;   in Loop: Header=BB18_650 Depth=1
	s_andn2_saveexec_b64 s[0:1], s[12:13]
; %bb.681:                              ;   in Loop: Header=BB18_650 Depth=1
	v_or_b32_sdwa v2, v13, s25 dst_sel:DWORD dst_unused:UNUSED_PAD src0_sel:BYTE_3 src1_sel:DWORD
	v_cmp_eq_u64_e32 vcc, 0, v[10:11]
	v_cndmask_b32_e32 v14, v2, v14, vcc
; %bb.682:                              ;   in Loop: Header=BB18_650 Depth=1
	s_or_b64 exec, exec, s[0:1]
	v_cvt_f32_f16_e32 v2, v3
	v_mov_b32_e32 v19, v11
	v_div_scale_f32 v10, s[0:1], s95, s95, v2
	v_rcp_f32_e32 v13, v10
	v_div_scale_f32 v15, vcc, v2, s95, v2
	v_fma_f32 v16, -v10, v13, 1.0
	v_fmac_f32_e32 v13, v16, v13
	v_mul_f32_e32 v16, v15, v13
	v_fma_f32 v17, -v10, v16, v15
	v_fmac_f32_e32 v16, v17, v13
	v_fma_f32 v10, -v10, v16, v15
	v_div_fmas_f32 v10, v10, v13, v16
	v_div_fixup_f32 v2, v10, s95, v2
	v_cvt_f16_f32_e32 v2, v2
	v_cvt_f32_f16_e32 v13, v2
	v_and_b32_sdwa v2, v13, s23 dst_sel:DWORD dst_unused:UNUSED_PAD src0_sel:BYTE_3 src1_sel:DWORD
	v_and_b32_e32 v18, 0x7f800000, v13
	v_and_b32_e32 v10, 0x7fffff, v13
	v_or_b32_e32 v16, 0x7e, v2
	v_cmp_ne_u64_e32 vcc, s[6:7], v[18:19]
	s_and_saveexec_b64 s[0:1], vcc
	s_xor_b64 s[12:13], exec, s[0:1]
	s_cbranch_execz .LBB18_696
; %bb.683:                              ;   in Loop: Header=BB18_650 Depth=1
	v_and_b32_e32 v18, 0x7fffffff, v13
	v_mov_b32_e32 v19, v11
	v_cmp_gt_u64_e32 vcc, s[8:9], v[18:19]
	s_and_saveexec_b64 s[0:1], vcc
	s_xor_b64 s[14:15], exec, s[0:1]
	s_cbranch_execz .LBB18_695
; %bb.684:                              ;   in Loop: Header=BB18_650 Depth=1
	v_cmp_ne_u32_e32 vcc, 0, v13
	v_pk_mov_b32 v[16:17], 0, 0
	s_and_saveexec_b64 s[16:17], vcc
	s_cbranch_execz .LBB18_694
; %bb.685:                              ;   in Loop: Header=BB18_650 Depth=1
	v_bfe_u32 v13, v13, 23, 8
	v_sub_u32_e32 v16, 0x79, v13
	v_cmp_gt_u32_e32 vcc, s24, v13
	v_add_u32_e32 v15, 0xffffff81, v13
	v_cndmask_b32_e32 v16, 0, v16, vcc
	v_cmp_eq_u32_e32 vcc, 0, v13
	v_cndmask_b32_e32 v13, v15, v1, vcc
	v_cndmask_b32_e32 v15, v16, v28, vcc
	v_or_b32_e32 v17, 0x800000, v10
	v_add_u32_e32 v16, 20, v15
	v_cndmask_b32_e32 v10, v17, v10, vcc
	v_lshlrev_b64 v[16:17], v16, -1
	v_not_b32_e32 v16, v16
	v_lshrrev_b64 v[20:21], v15, v[10:11]
	v_not_b32_e32 v17, v17
	v_and_b32_e32 v16, v10, v16
	v_add_u32_e32 v18, 19, v15
	v_lshrrev_b32_e32 v10, 23, v20
	v_and_b32_e32 v17, 0, v17
	v_lshlrev_b64 v[18:19], v18, 1
	v_add3_u32 v15, v15, v13, v10
	v_bfe_u32 v10, v20, 20, 1
	v_add_u32_e32 v10, -1, v10
	v_cmp_eq_u64_e32 vcc, v[16:17], v[18:19]
	v_cndmask_b32_e32 v10, 0, v10, vcc
	v_add_u32_e32 v10, v10, v20
	v_and_b32_e32 v10, 0xfffff, v10
	v_add_co_u32_e32 v16, vcc, v10, v20
	v_add_u32_e32 v13, 6, v15
	v_addc_co_u32_e32 v17, vcc, 0, v21, vcc
	v_cmp_ne_u32_e32 vcc, 0, v13
                                        ; implicit-def: $vgpr10
	s_and_saveexec_b64 s[0:1], vcc
	s_xor_b64 s[0:1], exec, s[0:1]
; %bb.686:                              ;   in Loop: Header=BB18_650 Depth=1
	v_add_u32_e32 v10, 7, v15
	v_cmp_lt_u64_e32 vcc, s[10:11], v[16:17]
	v_cndmask_b32_e32 v10, v13, v10, vcc
	v_cndmask_b32_e64 v13, 0, 1, vcc
	v_lshrrev_b64 v[16:17], v13, v[16:17]
; %bb.687:                              ;   in Loop: Header=BB18_650 Depth=1
	s_andn2_saveexec_b64 s[0:1], s[0:1]
; %bb.688:                              ;   in Loop: Header=BB18_650 Depth=1
	v_bfe_u32 v10, v16, 23, 1
; %bb.689:                              ;   in Loop: Header=BB18_650 Depth=1
	s_or_b64 exec, exec, s[0:1]
	v_lshrrev_b64 v[16:17], 20, v[16:17]
	v_cmp_gt_i32_e32 vcc, 16, v10
	v_cndmask_b32_e32 v19, 0, v17, vcc
	v_cndmask_b32_e32 v18, 7, v16, vcc
	v_cmp_ne_u32_e32 vcc, 0, v10
	v_cmp_ne_u64_e64 s[0:1], 0, v[18:19]
	s_or_b64 s[0:1], vcc, s[0:1]
                                        ; implicit-def: $vgpr16_vgpr17
	s_and_saveexec_b64 s[28:29], s[0:1]
	s_xor_b64 s[0:1], exec, s[28:29]
; %bb.690:                              ;   in Loop: Header=BB18_650 Depth=1
	v_min_i32_e32 v10, 15, v10
	v_lshl_or_b32 v2, v10, 3, v2
	v_and_or_b32 v16, v18, 7, v2
                                        ; implicit-def: $vgpr2
; %bb.691:                              ;   in Loop: Header=BB18_650 Depth=1
	s_andn2_saveexec_b64 s[0:1], s[0:1]
; %bb.692:                              ;   in Loop: Header=BB18_650 Depth=1
	v_pk_mov_b32 v[16:17], v[2:3], v[2:3] op_sel:[0,1]
; %bb.693:                              ;   in Loop: Header=BB18_650 Depth=1
	s_or_b64 exec, exec, s[0:1]
.LBB18_694:                             ;   in Loop: Header=BB18_650 Depth=1
	s_or_b64 exec, exec, s[16:17]
.LBB18_695:                             ;   in Loop: Header=BB18_650 Depth=1
	s_andn2_saveexec_b64 s[0:1], s[14:15]
	s_or_b64 exec, exec, s[0:1]
                                        ; implicit-def: $vgpr13
.LBB18_696:                             ;   in Loop: Header=BB18_650 Depth=1
	s_andn2_saveexec_b64 s[0:1], s[12:13]
; %bb.697:                              ;   in Loop: Header=BB18_650 Depth=1
	v_or_b32_sdwa v2, v13, s25 dst_sel:DWORD dst_unused:UNUSED_PAD src0_sel:BYTE_3 src1_sel:DWORD
	v_cmp_eq_u64_e32 vcc, 0, v[10:11]
	v_cndmask_b32_e32 v16, v2, v16, vcc
; %bb.698:                              ;   in Loop: Header=BB18_650 Depth=1
	s_or_b64 exec, exec, s[0:1]
	v_cvt_f32_f16_sdwa v2, v3 dst_sel:DWORD dst_unused:UNUSED_PAD src0_sel:WORD_1
	v_mov_b32_e32 v21, v11
	v_div_scale_f32 v3, s[0:1], s95, s95, v2
	v_rcp_f32_e32 v10, v3
	v_div_scale_f32 v13, vcc, v2, s95, v2
	v_fma_f32 v15, -v3, v10, 1.0
	v_fmac_f32_e32 v10, v15, v10
	v_mul_f32_e32 v15, v13, v10
	v_fma_f32 v17, -v3, v15, v13
	v_fmac_f32_e32 v15, v17, v10
	v_fma_f32 v3, -v3, v15, v13
	v_div_fmas_f32 v3, v3, v10, v15
	v_div_fixup_f32 v2, v3, s95, v2
	v_cvt_f16_f32_e32 v2, v2
	v_cvt_f32_f16_e32 v13, v2
	v_and_b32_sdwa v18, v13, s23 dst_sel:DWORD dst_unused:UNUSED_PAD src0_sel:BYTE_3 src1_sel:DWORD
	v_and_b32_e32 v20, 0x7f800000, v13
	v_and_b32_e32 v10, 0x7fffff, v13
	v_or_b32_e32 v2, 0x7e, v18
	v_cmp_ne_u64_e32 vcc, s[6:7], v[20:21]
	s_and_saveexec_b64 s[0:1], vcc
	s_xor_b64 s[12:13], exec, s[0:1]
	s_cbranch_execz .LBB18_712
; %bb.699:                              ;   in Loop: Header=BB18_650 Depth=1
	v_and_b32_e32 v20, 0x7fffffff, v13
	v_mov_b32_e32 v21, v11
	v_cmp_gt_u64_e32 vcc, s[8:9], v[20:21]
	s_and_saveexec_b64 s[0:1], vcc
	s_xor_b64 s[14:15], exec, s[0:1]
	s_cbranch_execz .LBB18_711
; %bb.700:                              ;   in Loop: Header=BB18_650 Depth=1
	v_cmp_ne_u32_e32 vcc, 0, v13
	v_pk_mov_b32 v[2:3], 0, 0
	s_and_saveexec_b64 s[16:17], vcc
	s_cbranch_execz .LBB18_710
; %bb.701:                              ;   in Loop: Header=BB18_650 Depth=1
	v_bfe_u32 v2, v13, 23, 8
	v_sub_u32_e32 v13, 0x79, v2
	v_cmp_gt_u32_e32 vcc, s24, v2
	v_cndmask_b32_e32 v13, 0, v13, vcc
	v_cmp_eq_u32_e32 vcc, 0, v2
	v_cndmask_b32_e32 v13, v13, v28, vcc
	v_add_u32_e32 v3, 0xffffff81, v2
	v_or_b32_e32 v15, 0x800000, v10
	v_add_u32_e32 v2, 20, v13
	v_cndmask_b32_e32 v17, v3, v1, vcc
	v_cndmask_b32_e32 v10, v15, v10, vcc
	v_lshlrev_b64 v[2:3], v2, -1
	v_not_b32_e32 v2, v2
	v_lshrrev_b64 v[22:23], v13, v[10:11]
	v_not_b32_e32 v3, v3
	v_and_b32_e32 v2, v10, v2
	v_add_u32_e32 v15, 19, v13
	v_lshrrev_b32_e32 v10, 23, v22
	v_and_b32_e32 v3, 0, v3
	v_lshlrev_b64 v[20:21], v15, 1
	v_add3_u32 v15, v13, v17, v10
	v_bfe_u32 v10, v22, 20, 1
	v_add_u32_e32 v10, -1, v10
	v_cmp_eq_u64_e32 vcc, v[2:3], v[20:21]
	v_cndmask_b32_e32 v2, 0, v10, vcc
	v_add_u32_e32 v2, v2, v22
	v_and_b32_e32 v2, 0xfffff, v2
	v_add_co_u32_e32 v2, vcc, v2, v22
	v_add_u32_e32 v13, 6, v15
	v_addc_co_u32_e32 v3, vcc, 0, v23, vcc
	v_cmp_ne_u32_e32 vcc, 0, v13
                                        ; implicit-def: $vgpr10
	s_and_saveexec_b64 s[0:1], vcc
	s_xor_b64 s[0:1], exec, s[0:1]
; %bb.702:                              ;   in Loop: Header=BB18_650 Depth=1
	v_add_u32_e32 v10, 7, v15
	v_cmp_lt_u64_e32 vcc, s[10:11], v[2:3]
	v_cndmask_b32_e32 v10, v13, v10, vcc
	v_cndmask_b32_e64 v13, 0, 1, vcc
	v_lshrrev_b64 v[2:3], v13, v[2:3]
; %bb.703:                              ;   in Loop: Header=BB18_650 Depth=1
	s_andn2_saveexec_b64 s[0:1], s[0:1]
; %bb.704:                              ;   in Loop: Header=BB18_650 Depth=1
	v_bfe_u32 v10, v2, 23, 1
; %bb.705:                              ;   in Loop: Header=BB18_650 Depth=1
	s_or_b64 exec, exec, s[0:1]
	v_lshrrev_b64 v[2:3], 20, v[2:3]
	v_cmp_gt_i32_e32 vcc, 16, v10
	v_cndmask_b32_e32 v21, 0, v3, vcc
	v_cndmask_b32_e32 v20, 7, v2, vcc
	v_cmp_ne_u32_e32 vcc, 0, v10
	v_cmp_ne_u64_e64 s[0:1], 0, v[20:21]
	s_or_b64 s[0:1], vcc, s[0:1]
                                        ; implicit-def: $vgpr2_vgpr3
	s_and_saveexec_b64 s[28:29], s[0:1]
	s_xor_b64 s[0:1], exec, s[28:29]
; %bb.706:                              ;   in Loop: Header=BB18_650 Depth=1
	v_min_i32_e32 v2, 15, v10
	v_lshl_or_b32 v2, v2, 3, v18
	v_and_or_b32 v2, v20, 7, v2
                                        ; implicit-def: $vgpr18
; %bb.707:                              ;   in Loop: Header=BB18_650 Depth=1
	s_andn2_saveexec_b64 s[0:1], s[0:1]
; %bb.708:                              ;   in Loop: Header=BB18_650 Depth=1
	v_pk_mov_b32 v[2:3], v[18:19], v[18:19] op_sel:[0,1]
; %bb.709:                              ;   in Loop: Header=BB18_650 Depth=1
	s_or_b64 exec, exec, s[0:1]
.LBB18_710:                             ;   in Loop: Header=BB18_650 Depth=1
	s_or_b64 exec, exec, s[16:17]
.LBB18_711:                             ;   in Loop: Header=BB18_650 Depth=1
	s_andn2_saveexec_b64 s[0:1], s[14:15]
	s_or_b64 exec, exec, s[0:1]
                                        ; implicit-def: $vgpr13
.LBB18_712:                             ;   in Loop: Header=BB18_650 Depth=1
	s_andn2_saveexec_b64 s[0:1], s[12:13]
; %bb.713:                              ;   in Loop: Header=BB18_650 Depth=1
	v_or_b32_sdwa v3, v13, s25 dst_sel:DWORD dst_unused:UNUSED_PAD src0_sel:BYTE_3 src1_sel:DWORD
	v_cmp_eq_u64_e32 vcc, 0, v[10:11]
	v_cndmask_b32_e32 v2, v3, v2, vcc
; %bb.714:                              ;   in Loop: Header=BB18_650 Depth=1
	s_or_b64 exec, exec, s[0:1]
	v_cvt_f32_f16_e32 v3, v4
	v_mov_b32_e32 v23, v11
	v_div_scale_f32 v10, s[0:1], s95, s95, v3
	v_rcp_f32_e32 v13, v10
	v_div_scale_f32 v15, vcc, v3, s95, v3
	v_fma_f32 v17, -v10, v13, 1.0
	v_fmac_f32_e32 v13, v17, v13
	v_mul_f32_e32 v17, v15, v13
	v_fma_f32 v18, -v10, v17, v15
	v_fmac_f32_e32 v17, v18, v13
	v_fma_f32 v10, -v10, v17, v15
	v_div_fmas_f32 v10, v10, v13, v17
	v_div_fixup_f32 v3, v10, s95, v3
	v_cvt_f16_f32_e32 v3, v3
	v_cvt_f32_f16_e32 v3, v3
	v_and_b32_sdwa v20, v3, s23 dst_sel:DWORD dst_unused:UNUSED_PAD src0_sel:BYTE_3 src1_sel:DWORD
	v_and_b32_e32 v22, 0x7f800000, v3
	v_and_b32_e32 v10, 0x7fffff, v3
	v_or_b32_e32 v18, 0x7e, v20
	v_cmp_ne_u64_e32 vcc, s[6:7], v[22:23]
	s_and_saveexec_b64 s[0:1], vcc
	s_xor_b64 s[12:13], exec, s[0:1]
	s_cbranch_execz .LBB18_728
; %bb.715:                              ;   in Loop: Header=BB18_650 Depth=1
	v_and_b32_e32 v22, 0x7fffffff, v3
	v_mov_b32_e32 v23, v11
	v_cmp_gt_u64_e32 vcc, s[8:9], v[22:23]
	s_and_saveexec_b64 s[0:1], vcc
	s_xor_b64 s[14:15], exec, s[0:1]
	s_cbranch_execz .LBB18_727
; %bb.716:                              ;   in Loop: Header=BB18_650 Depth=1
	v_cmp_ne_u32_e32 vcc, 0, v3
	v_pk_mov_b32 v[18:19], 0, 0
	s_and_saveexec_b64 s[16:17], vcc
	s_cbranch_execz .LBB18_726
; %bb.717:                              ;   in Loop: Header=BB18_650 Depth=1
	v_bfe_u32 v3, v3, 23, 8
	v_sub_u32_e32 v15, 0x79, v3
	v_cmp_gt_u32_e32 vcc, s24, v3
	v_add_u32_e32 v13, 0xffffff81, v3
	v_cndmask_b32_e32 v15, 0, v15, vcc
	v_cmp_eq_u32_e32 vcc, 0, v3
	v_cndmask_b32_e32 v3, v13, v1, vcc
	v_cndmask_b32_e32 v13, v15, v28, vcc
	v_or_b32_e32 v17, 0x800000, v10
	v_add_u32_e32 v15, 20, v13
	v_cndmask_b32_e32 v10, v17, v10, vcc
	v_lshlrev_b64 v[18:19], v15, -1
	v_not_b32_e32 v15, v19
	v_not_b32_e32 v17, v18
	v_lshrrev_b64 v[24:25], v13, v[10:11]
	v_and_b32_e32 v19, 0, v15
	v_and_b32_e32 v18, v10, v17
	v_add_u32_e32 v15, 19, v13
	v_lshrrev_b32_e32 v10, 23, v24
	v_lshlrev_b64 v[22:23], v15, 1
	v_add3_u32 v13, v13, v3, v10
	v_bfe_u32 v3, v24, 20, 1
	v_add_u32_e32 v3, -1, v3
	v_cmp_eq_u64_e32 vcc, v[18:19], v[22:23]
	v_cndmask_b32_e32 v3, 0, v3, vcc
	v_add_u32_e32 v3, v3, v24
	v_and_b32_e32 v3, 0xfffff, v3
	v_add_co_u32_e32 v18, vcc, v3, v24
	v_add_u32_e32 v10, 6, v13
	v_addc_co_u32_e32 v19, vcc, 0, v25, vcc
	v_cmp_ne_u32_e32 vcc, 0, v10
                                        ; implicit-def: $vgpr3
	s_and_saveexec_b64 s[0:1], vcc
	s_xor_b64 s[0:1], exec, s[0:1]
; %bb.718:                              ;   in Loop: Header=BB18_650 Depth=1
	v_add_u32_e32 v3, 7, v13
	v_cmp_lt_u64_e32 vcc, s[10:11], v[18:19]
	v_cndmask_b32_e32 v3, v10, v3, vcc
	v_cndmask_b32_e64 v10, 0, 1, vcc
	v_lshrrev_b64 v[18:19], v10, v[18:19]
; %bb.719:                              ;   in Loop: Header=BB18_650 Depth=1
	s_andn2_saveexec_b64 s[0:1], s[0:1]
; %bb.720:                              ;   in Loop: Header=BB18_650 Depth=1
	v_bfe_u32 v3, v18, 23, 1
; %bb.721:                              ;   in Loop: Header=BB18_650 Depth=1
	s_or_b64 exec, exec, s[0:1]
	v_lshrrev_b64 v[18:19], 20, v[18:19]
	v_cmp_gt_i32_e32 vcc, 16, v3
	v_cndmask_b32_e32 v23, 0, v19, vcc
	v_cndmask_b32_e32 v22, 7, v18, vcc
	v_cmp_ne_u32_e32 vcc, 0, v3
	v_cmp_ne_u64_e64 s[0:1], 0, v[22:23]
	s_or_b64 s[0:1], vcc, s[0:1]
                                        ; implicit-def: $vgpr18_vgpr19
	s_and_saveexec_b64 s[28:29], s[0:1]
	s_xor_b64 s[0:1], exec, s[28:29]
; %bb.722:                              ;   in Loop: Header=BB18_650 Depth=1
	v_min_i32_e32 v3, 15, v3
	v_lshl_or_b32 v3, v3, 3, v20
	v_and_or_b32 v18, v22, 7, v3
                                        ; implicit-def: $vgpr20
; %bb.723:                              ;   in Loop: Header=BB18_650 Depth=1
	s_andn2_saveexec_b64 s[0:1], s[0:1]
; %bb.724:                              ;   in Loop: Header=BB18_650 Depth=1
	v_pk_mov_b32 v[18:19], v[20:21], v[20:21] op_sel:[0,1]
; %bb.725:                              ;   in Loop: Header=BB18_650 Depth=1
	s_or_b64 exec, exec, s[0:1]
.LBB18_726:                             ;   in Loop: Header=BB18_650 Depth=1
	s_or_b64 exec, exec, s[16:17]
.LBB18_727:                             ;   in Loop: Header=BB18_650 Depth=1
	s_andn2_saveexec_b64 s[0:1], s[14:15]
	s_or_b64 exec, exec, s[0:1]
                                        ; implicit-def: $vgpr3
.LBB18_728:                             ;   in Loop: Header=BB18_650 Depth=1
	s_andn2_saveexec_b64 s[0:1], s[12:13]
; %bb.729:                              ;   in Loop: Header=BB18_650 Depth=1
	v_or_b32_sdwa v3, v3, s25 dst_sel:DWORD dst_unused:UNUSED_PAD src0_sel:BYTE_3 src1_sel:DWORD
	v_cmp_eq_u64_e32 vcc, 0, v[10:11]
	v_cndmask_b32_e32 v18, v3, v18, vcc
; %bb.730:                              ;   in Loop: Header=BB18_650 Depth=1
	s_or_b64 exec, exec, s[0:1]
	v_cvt_f32_f16_sdwa v3, v4 dst_sel:DWORD dst_unused:UNUSED_PAD src0_sel:WORD_1
	v_mov_b32_e32 v23, v11
	v_div_scale_f32 v4, s[0:1], s95, s95, v3
	v_rcp_f32_e32 v10, v4
	v_div_scale_f32 v13, vcc, v3, s95, v3
	v_fma_f32 v15, -v4, v10, 1.0
	v_fmac_f32_e32 v10, v15, v10
	v_mul_f32_e32 v15, v13, v10
	v_fma_f32 v17, -v4, v15, v13
	v_fmac_f32_e32 v15, v17, v10
	v_fma_f32 v4, -v4, v15, v13
	v_div_fmas_f32 v4, v4, v10, v15
	v_div_fixup_f32 v3, v4, s95, v3
	v_cvt_f16_f32_e32 v3, v3
	v_cvt_f32_f16_e32 v3, v3
	v_and_b32_sdwa v4, v3, s23 dst_sel:DWORD dst_unused:UNUSED_PAD src0_sel:BYTE_3 src1_sel:DWORD
	v_and_b32_e32 v22, 0x7f800000, v3
	v_and_b32_e32 v10, 0x7fffff, v3
	v_or_b32_e32 v20, 0x7e, v4
	v_cmp_ne_u64_e32 vcc, s[6:7], v[22:23]
	s_and_saveexec_b64 s[0:1], vcc
	s_xor_b64 s[12:13], exec, s[0:1]
	s_cbranch_execz .LBB18_744
; %bb.731:                              ;   in Loop: Header=BB18_650 Depth=1
	v_and_b32_e32 v22, 0x7fffffff, v3
	v_mov_b32_e32 v23, v11
	v_cmp_gt_u64_e32 vcc, s[8:9], v[22:23]
	s_and_saveexec_b64 s[0:1], vcc
	s_xor_b64 s[14:15], exec, s[0:1]
	s_cbranch_execz .LBB18_743
; %bb.732:                              ;   in Loop: Header=BB18_650 Depth=1
	v_cmp_ne_u32_e32 vcc, 0, v3
	v_pk_mov_b32 v[20:21], 0, 0
	s_and_saveexec_b64 s[16:17], vcc
	s_cbranch_execz .LBB18_742
; %bb.733:                              ;   in Loop: Header=BB18_650 Depth=1
	v_bfe_u32 v3, v3, 23, 8
	v_sub_u32_e32 v15, 0x79, v3
	v_cmp_gt_u32_e32 vcc, s24, v3
	v_add_u32_e32 v13, 0xffffff81, v3
	v_cndmask_b32_e32 v15, 0, v15, vcc
	v_cmp_eq_u32_e32 vcc, 0, v3
	v_cndmask_b32_e32 v3, v13, v1, vcc
	v_cndmask_b32_e32 v13, v15, v28, vcc
	v_or_b32_e32 v17, 0x800000, v10
	v_add_u32_e32 v15, 20, v13
	v_cndmask_b32_e32 v10, v17, v10, vcc
	v_lshlrev_b64 v[20:21], v15, -1
	v_not_b32_e32 v15, v21
	v_not_b32_e32 v17, v20
	v_lshrrev_b64 v[24:25], v13, v[10:11]
	v_and_b32_e32 v21, 0, v15
	v_and_b32_e32 v20, v10, v17
	v_add_u32_e32 v15, 19, v13
	v_lshrrev_b32_e32 v10, 23, v24
	v_lshlrev_b64 v[22:23], v15, 1
	v_add3_u32 v13, v13, v3, v10
	v_bfe_u32 v3, v24, 20, 1
	v_add_u32_e32 v3, -1, v3
	v_cmp_eq_u64_e32 vcc, v[20:21], v[22:23]
	v_cndmask_b32_e32 v3, 0, v3, vcc
	v_add_u32_e32 v3, v3, v24
	v_and_b32_e32 v3, 0xfffff, v3
	v_add_co_u32_e32 v20, vcc, v3, v24
	v_add_u32_e32 v10, 6, v13
	v_addc_co_u32_e32 v21, vcc, 0, v25, vcc
	v_cmp_ne_u32_e32 vcc, 0, v10
                                        ; implicit-def: $vgpr3
	s_and_saveexec_b64 s[0:1], vcc
	s_xor_b64 s[0:1], exec, s[0:1]
; %bb.734:                              ;   in Loop: Header=BB18_650 Depth=1
	v_add_u32_e32 v3, 7, v13
	v_cmp_lt_u64_e32 vcc, s[10:11], v[20:21]
	v_cndmask_b32_e32 v3, v10, v3, vcc
	v_cndmask_b32_e64 v10, 0, 1, vcc
	v_lshrrev_b64 v[20:21], v10, v[20:21]
; %bb.735:                              ;   in Loop: Header=BB18_650 Depth=1
	s_andn2_saveexec_b64 s[0:1], s[0:1]
; %bb.736:                              ;   in Loop: Header=BB18_650 Depth=1
	v_bfe_u32 v3, v20, 23, 1
; %bb.737:                              ;   in Loop: Header=BB18_650 Depth=1
	s_or_b64 exec, exec, s[0:1]
	v_lshrrev_b64 v[20:21], 20, v[20:21]
	v_cmp_gt_i32_e32 vcc, 16, v3
	v_cndmask_b32_e32 v23, 0, v21, vcc
	v_cndmask_b32_e32 v22, 7, v20, vcc
	v_cmp_ne_u32_e32 vcc, 0, v3
	v_cmp_ne_u64_e64 s[0:1], 0, v[22:23]
	s_or_b64 s[0:1], vcc, s[0:1]
                                        ; implicit-def: $vgpr20_vgpr21
	s_and_saveexec_b64 s[28:29], s[0:1]
	s_xor_b64 s[0:1], exec, s[28:29]
; %bb.738:                              ;   in Loop: Header=BB18_650 Depth=1
	v_min_i32_e32 v3, 15, v3
	v_lshl_or_b32 v3, v3, 3, v4
	v_and_or_b32 v20, v22, 7, v3
                                        ; implicit-def: $vgpr4
; %bb.739:                              ;   in Loop: Header=BB18_650 Depth=1
	s_andn2_saveexec_b64 s[0:1], s[0:1]
; %bb.740:                              ;   in Loop: Header=BB18_650 Depth=1
	v_pk_mov_b32 v[20:21], v[4:5], v[4:5] op_sel:[0,1]
; %bb.741:                              ;   in Loop: Header=BB18_650 Depth=1
	s_or_b64 exec, exec, s[0:1]
.LBB18_742:                             ;   in Loop: Header=BB18_650 Depth=1
	s_or_b64 exec, exec, s[16:17]
.LBB18_743:                             ;   in Loop: Header=BB18_650 Depth=1
	s_andn2_saveexec_b64 s[0:1], s[14:15]
	s_or_b64 exec, exec, s[0:1]
                                        ; implicit-def: $vgpr3
.LBB18_744:                             ;   in Loop: Header=BB18_650 Depth=1
	s_andn2_saveexec_b64 s[0:1], s[12:13]
; %bb.745:                              ;   in Loop: Header=BB18_650 Depth=1
	v_or_b32_sdwa v3, v3, s25 dst_sel:DWORD dst_unused:UNUSED_PAD src0_sel:BYTE_3 src1_sel:DWORD
	v_cmp_eq_u64_e32 vcc, 0, v[10:11]
	v_cndmask_b32_e32 v20, v3, v20, vcc
; %bb.746:                              ;   in Loop: Header=BB18_650 Depth=1
	s_or_b64 exec, exec, s[0:1]
	v_cvt_f32_f16_e32 v3, v5
	v_mov_b32_e32 v25, v11
	v_div_scale_f32 v4, s[0:1], s95, s95, v3
	v_rcp_f32_e32 v10, v4
	v_div_scale_f32 v13, vcc, v3, s95, v3
	v_fma_f32 v15, -v4, v10, 1.0
	v_fmac_f32_e32 v10, v15, v10
	v_mul_f32_e32 v15, v13, v10
	v_fma_f32 v17, -v4, v15, v13
	v_fmac_f32_e32 v15, v17, v10
	v_fma_f32 v4, -v4, v15, v13
	v_div_fmas_f32 v4, v4, v10, v15
	v_div_fixup_f32 v3, v4, s95, v3
	v_cvt_f16_f32_e32 v3, v3
	v_cvt_f32_f16_e32 v3, v3
	v_and_b32_sdwa v4, v3, s23 dst_sel:DWORD dst_unused:UNUSED_PAD src0_sel:BYTE_3 src1_sel:DWORD
	v_and_b32_e32 v24, 0x7f800000, v3
	v_and_b32_e32 v10, 0x7fffff, v3
	v_or_b32_e32 v22, 0x7e, v4
	v_cmp_ne_u64_e32 vcc, s[6:7], v[24:25]
	s_and_saveexec_b64 s[0:1], vcc
	s_xor_b64 s[12:13], exec, s[0:1]
	s_cbranch_execz .LBB18_760
; %bb.747:                              ;   in Loop: Header=BB18_650 Depth=1
	v_and_b32_e32 v24, 0x7fffffff, v3
	v_mov_b32_e32 v25, v11
	v_cmp_gt_u64_e32 vcc, s[8:9], v[24:25]
	s_and_saveexec_b64 s[0:1], vcc
	s_xor_b64 s[14:15], exec, s[0:1]
	s_cbranch_execz .LBB18_759
; %bb.748:                              ;   in Loop: Header=BB18_650 Depth=1
	v_cmp_ne_u32_e32 vcc, 0, v3
	v_pk_mov_b32 v[22:23], 0, 0
	s_and_saveexec_b64 s[16:17], vcc
	s_cbranch_execz .LBB18_758
; %bb.749:                              ;   in Loop: Header=BB18_650 Depth=1
	v_bfe_u32 v3, v3, 23, 8
	v_sub_u32_e32 v15, 0x79, v3
	v_cmp_gt_u32_e32 vcc, s24, v3
	v_add_u32_e32 v13, 0xffffff81, v3
	v_cndmask_b32_e32 v15, 0, v15, vcc
	v_cmp_eq_u32_e32 vcc, 0, v3
	v_cndmask_b32_e32 v3, v13, v1, vcc
	v_cndmask_b32_e32 v13, v15, v28, vcc
	v_or_b32_e32 v17, 0x800000, v10
	v_add_u32_e32 v15, 20, v13
	v_cndmask_b32_e32 v10, v17, v10, vcc
	v_lshlrev_b64 v[22:23], v15, -1
	v_not_b32_e32 v15, v23
	v_not_b32_e32 v17, v22
	v_lshrrev_b64 v[26:27], v13, v[10:11]
	v_and_b32_e32 v23, 0, v15
	v_and_b32_e32 v22, v10, v17
	v_add_u32_e32 v15, 19, v13
	v_lshrrev_b32_e32 v10, 23, v26
	v_lshlrev_b64 v[24:25], v15, 1
	v_add3_u32 v13, v13, v3, v10
	v_bfe_u32 v3, v26, 20, 1
	v_add_u32_e32 v3, -1, v3
	v_cmp_eq_u64_e32 vcc, v[22:23], v[24:25]
	v_cndmask_b32_e32 v3, 0, v3, vcc
	v_add_u32_e32 v3, v3, v26
	v_and_b32_e32 v3, 0xfffff, v3
	v_add_co_u32_e32 v22, vcc, v3, v26
	v_add_u32_e32 v10, 6, v13
	v_addc_co_u32_e32 v23, vcc, 0, v27, vcc
	v_cmp_ne_u32_e32 vcc, 0, v10
                                        ; implicit-def: $vgpr3
	s_and_saveexec_b64 s[0:1], vcc
	s_xor_b64 s[0:1], exec, s[0:1]
; %bb.750:                              ;   in Loop: Header=BB18_650 Depth=1
	v_add_u32_e32 v3, 7, v13
	v_cmp_lt_u64_e32 vcc, s[10:11], v[22:23]
	v_cndmask_b32_e32 v3, v10, v3, vcc
	v_cndmask_b32_e64 v10, 0, 1, vcc
	v_lshrrev_b64 v[22:23], v10, v[22:23]
; %bb.751:                              ;   in Loop: Header=BB18_650 Depth=1
	s_andn2_saveexec_b64 s[0:1], s[0:1]
; %bb.752:                              ;   in Loop: Header=BB18_650 Depth=1
	v_bfe_u32 v3, v22, 23, 1
; %bb.753:                              ;   in Loop: Header=BB18_650 Depth=1
	s_or_b64 exec, exec, s[0:1]
	v_lshrrev_b64 v[22:23], 20, v[22:23]
	v_cmp_gt_i32_e32 vcc, 16, v3
	v_cndmask_b32_e32 v25, 0, v23, vcc
	v_cndmask_b32_e32 v24, 7, v22, vcc
	v_cmp_ne_u32_e32 vcc, 0, v3
	v_cmp_ne_u64_e64 s[0:1], 0, v[24:25]
	s_or_b64 s[0:1], vcc, s[0:1]
                                        ; implicit-def: $vgpr22_vgpr23
	s_and_saveexec_b64 s[28:29], s[0:1]
	s_xor_b64 s[0:1], exec, s[28:29]
; %bb.754:                              ;   in Loop: Header=BB18_650 Depth=1
	v_min_i32_e32 v3, 15, v3
	v_lshl_or_b32 v3, v3, 3, v4
	v_and_or_b32 v22, v24, 7, v3
                                        ; implicit-def: $vgpr4
; %bb.755:                              ;   in Loop: Header=BB18_650 Depth=1
	s_andn2_saveexec_b64 s[0:1], s[0:1]
; %bb.756:                              ;   in Loop: Header=BB18_650 Depth=1
	v_pk_mov_b32 v[22:23], v[4:5], v[4:5] op_sel:[0,1]
; %bb.757:                              ;   in Loop: Header=BB18_650 Depth=1
	s_or_b64 exec, exec, s[0:1]
.LBB18_758:                             ;   in Loop: Header=BB18_650 Depth=1
	s_or_b64 exec, exec, s[16:17]
.LBB18_759:                             ;   in Loop: Header=BB18_650 Depth=1
	s_andn2_saveexec_b64 s[0:1], s[14:15]
	s_or_b64 exec, exec, s[0:1]
                                        ; implicit-def: $vgpr3
.LBB18_760:                             ;   in Loop: Header=BB18_650 Depth=1
	s_andn2_saveexec_b64 s[0:1], s[12:13]
; %bb.761:                              ;   in Loop: Header=BB18_650 Depth=1
	v_or_b32_sdwa v3, v3, s25 dst_sel:DWORD dst_unused:UNUSED_PAD src0_sel:BYTE_3 src1_sel:DWORD
	v_cmp_eq_u64_e32 vcc, 0, v[10:11]
	v_cndmask_b32_e32 v22, v3, v22, vcc
; %bb.762:                              ;   in Loop: Header=BB18_650 Depth=1
	s_or_b64 exec, exec, s[0:1]
	v_cvt_f32_f16_sdwa v3, v5 dst_sel:DWORD dst_unused:UNUSED_PAD src0_sel:WORD_1
	v_mov_b32_e32 v27, v11
	v_div_scale_f32 v4, s[0:1], s95, s95, v3
	v_rcp_f32_e32 v5, v4
	v_div_scale_f32 v10, vcc, v3, s95, v3
	v_fma_f32 v13, -v4, v5, 1.0
	v_fmac_f32_e32 v5, v13, v5
	v_mul_f32_e32 v13, v10, v5
	v_fma_f32 v15, -v4, v13, v10
	v_fmac_f32_e32 v13, v15, v5
	v_fma_f32 v4, -v4, v13, v10
	v_div_fmas_f32 v4, v4, v5, v13
	v_div_fixup_f32 v3, v4, s95, v3
	v_cvt_f16_f32_e32 v3, v3
	v_cvt_f32_f16_e32 v3, v3
	v_and_b32_sdwa v4, v3, s23 dst_sel:DWORD dst_unused:UNUSED_PAD src0_sel:BYTE_3 src1_sel:DWORD
	v_and_b32_e32 v26, 0x7f800000, v3
	v_and_b32_e32 v10, 0x7fffff, v3
	v_or_b32_e32 v24, 0x7e, v4
	v_cmp_ne_u64_e32 vcc, s[6:7], v[26:27]
	s_and_saveexec_b64 s[0:1], vcc
	s_xor_b64 s[12:13], exec, s[0:1]
	s_cbranch_execz .LBB18_776
; %bb.763:                              ;   in Loop: Header=BB18_650 Depth=1
	v_and_b32_e32 v26, 0x7fffffff, v3
	v_mov_b32_e32 v27, v11
	v_cmp_gt_u64_e32 vcc, s[8:9], v[26:27]
	s_and_saveexec_b64 s[0:1], vcc
	s_xor_b64 s[14:15], exec, s[0:1]
	s_cbranch_execz .LBB18_775
; %bb.764:                              ;   in Loop: Header=BB18_650 Depth=1
	v_cmp_ne_u32_e32 vcc, 0, v3
	v_pk_mov_b32 v[24:25], 0, 0
	s_and_saveexec_b64 s[16:17], vcc
	s_cbranch_execz .LBB18_774
; %bb.765:                              ;   in Loop: Header=BB18_650 Depth=1
	v_bfe_u32 v3, v3, 23, 8
	v_sub_u32_e32 v13, 0x79, v3
	v_cmp_gt_u32_e32 vcc, s24, v3
	v_add_u32_e32 v5, 0xffffff81, v3
	v_cndmask_b32_e32 v13, 0, v13, vcc
	v_cmp_eq_u32_e32 vcc, 0, v3
	v_cndmask_b32_e32 v3, v5, v1, vcc
	v_cndmask_b32_e32 v5, v13, v28, vcc
	v_or_b32_e32 v15, 0x800000, v10
	v_add_u32_e32 v13, 20, v5
	v_cndmask_b32_e32 v10, v15, v10, vcc
	v_lshlrev_b64 v[24:25], v13, -1
	v_not_b32_e32 v13, v25
	v_not_b32_e32 v15, v24
	v_lshrrev_b64 v[30:31], v5, v[10:11]
	v_and_b32_e32 v25, 0, v13
	v_and_b32_e32 v24, v10, v15
	v_add_u32_e32 v13, 19, v5
	v_lshrrev_b32_e32 v10, 23, v30
	v_lshlrev_b64 v[26:27], v13, 1
	v_add3_u32 v10, v5, v3, v10
	v_bfe_u32 v3, v30, 20, 1
	v_add_u32_e32 v3, -1, v3
	v_cmp_eq_u64_e32 vcc, v[24:25], v[26:27]
	v_cndmask_b32_e32 v3, 0, v3, vcc
	v_add_u32_e32 v3, v3, v30
	v_and_b32_e32 v3, 0xfffff, v3
	v_add_co_u32_e32 v24, vcc, v3, v30
	v_add_u32_e32 v5, 6, v10
	v_addc_co_u32_e32 v25, vcc, 0, v31, vcc
	v_cmp_ne_u32_e32 vcc, 0, v5
                                        ; implicit-def: $vgpr3
	s_and_saveexec_b64 s[0:1], vcc
	s_xor_b64 s[0:1], exec, s[0:1]
; %bb.766:                              ;   in Loop: Header=BB18_650 Depth=1
	v_add_u32_e32 v3, 7, v10
	v_cmp_lt_u64_e32 vcc, s[10:11], v[24:25]
	v_cndmask_b32_e32 v3, v5, v3, vcc
	v_cndmask_b32_e64 v5, 0, 1, vcc
	v_lshrrev_b64 v[24:25], v5, v[24:25]
; %bb.767:                              ;   in Loop: Header=BB18_650 Depth=1
	s_andn2_saveexec_b64 s[0:1], s[0:1]
; %bb.768:                              ;   in Loop: Header=BB18_650 Depth=1
	v_bfe_u32 v3, v24, 23, 1
; %bb.769:                              ;   in Loop: Header=BB18_650 Depth=1
	s_or_b64 exec, exec, s[0:1]
	v_lshrrev_b64 v[24:25], 20, v[24:25]
	v_cmp_gt_i32_e32 vcc, 16, v3
	v_cndmask_b32_e32 v27, 0, v25, vcc
	v_cndmask_b32_e32 v26, 7, v24, vcc
	v_cmp_ne_u32_e32 vcc, 0, v3
	v_cmp_ne_u64_e64 s[0:1], 0, v[26:27]
	s_or_b64 s[0:1], vcc, s[0:1]
                                        ; implicit-def: $vgpr24_vgpr25
	s_and_saveexec_b64 s[28:29], s[0:1]
	s_xor_b64 s[0:1], exec, s[28:29]
; %bb.770:                              ;   in Loop: Header=BB18_650 Depth=1
	v_min_i32_e32 v3, 15, v3
	v_lshl_or_b32 v3, v3, 3, v4
	v_and_or_b32 v24, v26, 7, v3
                                        ; implicit-def: $vgpr4
; %bb.771:                              ;   in Loop: Header=BB18_650 Depth=1
	s_andn2_saveexec_b64 s[0:1], s[0:1]
; %bb.772:                              ;   in Loop: Header=BB18_650 Depth=1
	v_pk_mov_b32 v[24:25], v[4:5], v[4:5] op_sel:[0,1]
; %bb.773:                              ;   in Loop: Header=BB18_650 Depth=1
	s_or_b64 exec, exec, s[0:1]
.LBB18_774:                             ;   in Loop: Header=BB18_650 Depth=1
	s_or_b64 exec, exec, s[16:17]
.LBB18_775:                             ;   in Loop: Header=BB18_650 Depth=1
	s_andn2_saveexec_b64 s[0:1], s[14:15]
	s_or_b64 exec, exec, s[0:1]
                                        ; implicit-def: $vgpr3
.LBB18_776:                             ;   in Loop: Header=BB18_650 Depth=1
	s_andn2_saveexec_b64 s[0:1], s[12:13]
	s_cbranch_execz .LBB18_649
; %bb.777:                              ;   in Loop: Header=BB18_650 Depth=1
	v_or_b32_sdwa v3, v3, s25 dst_sel:DWORD dst_unused:UNUSED_PAD src0_sel:BYTE_3 src1_sel:DWORD
	v_cmp_eq_u64_e32 vcc, 0, v[10:11]
	v_cndmask_b32_e32 v24, v3, v24, vcc
	s_branch .LBB18_649
.LBB18_778:
	s_or_b64 exec, exec, s[2:3]
	v_lshl_add_u32 v2, s18, 3, v0
	v_cmp_gt_i32_e32 vcc, s40, v2
	s_and_saveexec_b64 s[52:53], vcc
	s_cbranch_execz .LBB18_802
; %bb.779:
	v_cvt_f32_u32_e32 v1, s86
	v_add_u32_e32 v3, s86, v2
	v_mov_b32_e32 v4, s86
	s_sub_i32 s2, 0, s86
	v_rcp_iflag_f32_e32 v1, v1
	v_cmp_gt_i32_e32 vcc, s40, v3
	v_max_i32_e32 v5, s40, v3
	v_addc_co_u32_e64 v3, s[0:1], v2, v4, vcc
	v_mul_f32_e32 v1, 0x4f7ffffe, v1
	v_cvt_u32_f32_e32 v1, v1
	v_sub_u32_e32 v3, v5, v3
	s_cmp_eq_u32 s86, 1
	v_mul_lo_u32 v4, s2, v1
	v_mul_hi_u32 v4, v1, v4
	v_add_u32_e32 v1, v1, v4
	v_mul_hi_u32 v1, v3, v1
	v_mul_lo_u32 v4, v1, s86
	v_sub_u32_e32 v3, v3, v4
	v_add_u32_e32 v5, 1, v1
	v_cmp_le_u32_e64 s[0:1], s86, v3
	v_subrev_u32_e32 v4, s86, v3
	v_cndmask_b32_e64 v1, v1, v5, s[0:1]
	v_cndmask_b32_e64 v3, v3, v4, s[0:1]
	v_add_u32_e32 v4, 1, v1
	v_cmp_le_u32_e64 s[0:1], s86, v3
	v_cndmask_b32_e64 v1, v1, v4, s[0:1]
	v_addc_co_u32_e32 v1, vcc, 1, v1, vcc
	v_cmp_lt_u32_e32 vcc, 3, v1
	s_cselect_b64 s[0:1], -1, 0
	s_and_b64 s[2:3], vcc, s[0:1]
	s_mov_b64 s[0:1], -1
	s_and_saveexec_b64 s[56:57], s[2:3]
	s_cbranch_execz .LBB18_783
; %bb.780:
	v_writelane_b32 v99, s36, 1
	v_writelane_b32 v99, s37, 2
	;; [unrolled: 1-line block ×10, first 2 shown]
	s_lshl_b64 s[0:1], s[50:51], 1
	s_add_u32 s41, s80, s0
	v_readlane_b32 s0, v99, 0
	s_addc_u32 s0, s0, s1
	s_add_u32 s43, s43, s50
	s_addc_u32 s1, s55, s51
	v_and_b32_e32 v3, -4, v1
	s_mov_b64 s[48:49], s[34:35]
	s_mov_b32 s44, s95
	s_mov_b32 s45, s95
	s_mov_b32 s46, s95
	s_mov_b64 s[60:61], 0
	v_mov_b32_e32 v16, s1
	v_mov_b32_e32 v17, s0
	s_movk_i32 s47, 0x80
	s_mov_b64 s[62:63], 0x7f800000
	s_mov_b64 s[64:65], 0x43e00000
	;; [unrolled: 1-line block ×3, first 2 shown]
	s_movk_i32 s54, 0x7a
	v_mov_b32_e32 v18, 0xffffff82
	v_mov_b32_e32 v19, 0x78
	s_mov_b64 s[68:69], 0xffffff
	s_movk_i32 s55, 0x7f
	v_mov_b32_e32 v5, 0
	v_mov_b32_e32 v6, v2
	;; [unrolled: 1-line block ×3, first 2 shown]
.LBB18_781:                             ; =>This Inner Loop Header: Depth=1
	v_ashrrev_i32_e32 v7, 31, v6
	v_lshlrev_b64 v[8:9], 1, v[6:7]
	v_add_co_u32_e32 v8, vcc, s41, v8
	v_addc_co_u32_e32 v9, vcc, v17, v9, vcc
	global_load_dwordx2 v[22:23], v[8:9], off
	v_add_co_u32_e32 v8, vcc, s43, v6
	v_addc_co_u32_e32 v9, vcc, v16, v7, vcc
	v_mov_b32_e32 v35, v5
	v_mov_b32_e32 v33, v5
	;; [unrolled: 1-line block ×7, first 2 shown]
	v_add_u32_e32 v20, -4, v20
	v_add_u32_e32 v6, 4, v6
	s_waitcnt vmcnt(0)
	v_cvt_f32_f16_e32 v7, v22
	v_cvt_f32_f16_sdwa v12, v22 dst_sel:DWORD dst_unused:UNUSED_PAD src0_sel:WORD_1
	v_cvt_f32_f16_e32 v10, v23
	v_cvt_f32_f16_sdwa v4, v23 dst_sel:DWORD dst_unused:UNUSED_PAD src0_sel:WORD_1
	v_div_scale_f32 v14, s[0:1], s95, s95, v7
	v_div_scale_f32 v22, s[0:1], s44, s44, v12
	v_rcp_f32_e32 v28, v14
	v_div_scale_f32 v24, s[2:3], s45, s45, v10
	v_rcp_f32_e32 v29, v22
	;; [unrolled: 2-line block ×3, first 2 shown]
	v_rcp_f32_e32 v32, v26
	v_fma_f32 v34, -v14, v28, 1.0
	v_div_scale_f32 v21, vcc, v7, s95, v7
	v_fma_f32 v36, -v22, v29, 1.0
	v_fmac_f32_e32 v28, v34, v28
	v_div_scale_f32 v23, s[0:1], v12, s44, v12
	v_fma_f32 v38, -v24, v30, 1.0
	v_fmac_f32_e32 v29, v36, v29
	v_mul_f32_e32 v34, v21, v28
	v_div_scale_f32 v25, s[2:3], v10, s45, v10
	v_fma_f32 v39, -v26, v32, 1.0
	v_fmac_f32_e32 v30, v38, v30
	v_mul_f32_e32 v36, v23, v29
	v_fma_f32 v40, -v14, v34, v21
	v_div_scale_f32 v27, s[4:5], v4, s46, v4
	v_fmac_f32_e32 v32, v39, v32
	v_mul_f32_e32 v38, v25, v30
	v_fma_f32 v41, -v22, v36, v23
	v_fmac_f32_e32 v34, v40, v28
	v_mul_f32_e32 v39, v27, v32
	v_fma_f32 v42, -v24, v38, v25
	v_fmac_f32_e32 v36, v41, v29
	v_fma_f32 v14, -v14, v34, v21
	v_fma_f32 v43, -v26, v39, v27
	v_fmac_f32_e32 v38, v42, v30
	v_fma_f32 v21, -v22, v36, v23
	v_div_fmas_f32 v14, v14, v28, v34
	s_mov_b64 vcc, s[0:1]
	v_fmac_f32_e32 v39, v43, v32
	v_fma_f32 v22, -v24, v38, v25
	v_div_fixup_f32 v7, v14, s95, v7
	v_div_fmas_f32 v14, v21, v29, v36
	s_mov_b64 vcc, s[2:3]
	v_fma_f32 v23, -v26, v39, v27
	v_div_fixup_f32 v12, v14, s44, v12
	v_div_fmas_f32 v14, v22, v30, v38
	s_mov_b64 vcc, s[4:5]
	v_div_fixup_f32 v10, v14, s45, v10
	v_div_fmas_f32 v14, v23, v32, v39
	v_div_fixup_f32 v4, v14, s46, v4
	v_cvt_f16_f32_e32 v10, v10
	v_cvt_f16_f32_e32 v4, v4
	;; [unrolled: 1-line block ×4, first 2 shown]
	v_cvt_f32_f16_e32 v27, v10
	v_cvt_f32_f16_e32 v28, v4
	;; [unrolled: 1-line block ×4, first 2 shown]
	v_and_b32_e32 v34, 0x7f800000, v27
	v_and_b32_e32 v32, 0x7f800000, v28
	v_cmp_ne_u64_e64 s[6:7], s[62:63], v[34:35]
	v_and_b32_e32 v34, 0x7fffffff, v28
	v_cmp_ne_u64_e64 s[12:13], s[62:63], v[32:33]
	v_cmp_gt_u64_e64 s[10:11], s[66:67], v[34:35]
	v_and_b32_e32 v38, 0x7fffffff, v23
	v_bfe_u32 v45, v28, 23, 8
	v_mov_b32_e32 v39, v5
	s_and_b64 s[74:75], s[12:13], s[10:11]
	v_cmp_ne_u32_e64 s[22:23], 0, v28
	v_and_b32_e32 v36, 0x7f800000, v23
	v_bfe_u32 v44, v27, 23, 8
	v_cmp_lt_u64_e64 s[20:21], s[64:65], v[38:39]
	v_cmp_gt_u64_e64 s[2:3], s[66:67], v[38:39]
	s_and_b64 s[70:71], s[74:75], s[22:23]
	v_sub_u32_e32 v39, 0x79, v45
	v_cmp_gt_u32_e64 s[22:23], s54, v45
	v_bfe_u32 v43, v25, 23, 8
	v_cmp_ne_u64_e32 vcc, s[62:63], v[36:37]
	v_and_b32_e32 v36, 0x7fffffff, v25
	v_sub_u32_e32 v38, 0x79, v44
	v_cndmask_b32_e64 v39, 0, v39, s[22:23]
	v_cmp_gt_u32_e64 s[22:23], s54, v44
	v_bfe_u32 v42, v23, 23, 8
	v_and_b32_e32 v40, 0x7fffffff, v27
	v_mov_b32_e32 v41, v5
	v_cmp_lt_u64_e64 s[18:19], s[64:65], v[36:37]
	v_cmp_gt_u64_e64 s[4:5], s[66:67], v[36:37]
	v_sub_u32_e32 v37, 0x79, v43
	v_cndmask_b32_e64 v38, 0, v38, s[22:23]
	v_cmp_gt_u32_e64 s[22:23], s54, v43
	v_and_b32_e32 v30, 0x7f800000, v25
	v_cmp_gt_u64_e64 s[8:9], s[66:67], v[40:41]
	v_sub_u32_e32 v36, 0x79, v42
	v_cndmask_b32_e64 v37, 0, v37, s[22:23]
	v_cmp_gt_u32_e64 s[22:23], s54, v42
	v_and_b32_e32 v10, 0x7fffff, v27
	v_cmp_ne_u64_e64 s[0:1], s[62:63], v[30:31]
	s_and_b64 s[80:81], s[6:7], s[8:9]
	s_and_b64 s[84:85], vcc, s[2:3]
	v_cmp_ne_u32_e64 s[24:25], 0, v27
	v_cmp_ne_u32_e64 s[28:29], 0, v23
	v_cndmask_b32_e64 v36, 0, v36, s[22:23]
	v_cmp_eq_u32_e64 s[22:23], 0, v45
	v_and_b32_e32 v14, 0x7fffff, v23
	v_and_b32_e32 v4, 0x7fffff, v28
	v_cmp_lt_u64_e64 s[14:15], s[64:65], v[34:35]
	s_and_b64 s[82:83], s[0:1], s[4:5]
	v_cmp_ne_u32_e64 s[26:27], 0, v25
	s_and_b64 s[78:79], s[84:85], s[28:29]
	s_and_b64 s[72:73], s[80:81], s[24:25]
	v_add_u32_e32 v34, 0xffffff81, v44
	v_or_b32_e32 v46, 0x800000, v10
	v_cmp_eq_u32_e64 s[24:25], 0, v44
	v_cmp_eq_u32_e64 s[28:29], 0, v42
	v_cndmask_b32_e64 v63, v39, v19, s[22:23]
	v_and_b32_e32 v12, 0x7fffff, v25
	v_cmp_lt_u64_e64 s[16:17], s[64:65], v[40:41]
	s_and_b64 s[76:77], s[82:83], s[26:27]
	v_add_u32_e32 v32, 0xffffff81, v42
	v_or_b32_e32 v40, 0x800000, v14
	v_or_b32_e32 v47, 0x800000, v4
	v_cndmask_b32_e64 v57, v34, v18, s[24:25]
	v_cmp_eq_u32_e64 s[26:27], 0, v43
	v_cndmask_b32_e64 v60, v36, v19, s[28:29]
	v_cndmask_b32_e64 v34, v46, v10, s[24:25]
	v_add_u32_e32 v46, 20, v63
	v_add_u32_e32 v33, 0xffffff81, v43
	v_or_b32_e32 v41, 0x800000, v12
	v_cndmask_b32_e64 v59, v32, v18, s[28:29]
	v_cndmask_b32_e64 v61, v37, v19, s[26:27]
	;; [unrolled: 1-line block ×5, first 2 shown]
	v_add_u32_e32 v40, 20, v60
	v_lshlrev_b64 v[46:47], v46, -1
	v_cndmask_b32_e64 v58, v33, v18, s[26:27]
	v_mov_b32_e32 v33, v5
	v_cndmask_b32_e64 v36, v41, v12, s[26:27]
	v_add_u32_e32 v42, 20, v61
	v_lshlrev_b64 v[40:41], v40, -1
	v_not_b32_e32 v46, v46
	v_add_u32_e32 v35, 0xffffff81, v45
	v_mov_b32_e32 v39, v5
	v_add_u32_e32 v44, 20, v62
	v_lshlrev_b64 v[42:43], v42, -1
	v_not_b32_e32 v40, v40
	v_and_b32_e32 v46, v32, v46
	v_lshrrev_b64 v[32:33], v63, v[32:33]
	v_cndmask_b32_e64 v56, v35, v18, s[22:23]
	v_mov_b32_e32 v37, v5
	v_lshlrev_b64 v[44:45], v44, -1
	v_not_b32_e32 v42, v42
	v_and_b32_e32 v40, v38, v40
	v_add_u32_e32 v48, 19, v60
	v_lshrrev_b64 v[38:39], v60, v[38:39]
	v_lshrrev_b32_e32 v65, 23, v32
	v_mov_b32_e32 v35, v5
	v_not_b32_e32 v44, v44
	v_mov_b32_e32 v41, v5
	v_and_b32_e32 v42, v36, v42
	v_add_u32_e32 v50, 19, v61
	v_lshlrev_b64 v[48:49], v48, 1
	v_lshrrev_b64 v[36:37], v61, v[36:37]
	v_lshrrev_b32_e32 v66, 23, v38
	v_add3_u32 v56, v63, v56, v65
	v_bfe_u32 v65, v38, 20, 1
	v_mov_b32_e32 v43, v5
	v_and_b32_e32 v44, v34, v44
	v_add_u32_e32 v52, 19, v62
	v_lshlrev_b64 v[50:51], v50, 1
	v_bfe_u32 v53, v36, 20, 1
	v_lshrrev_b64 v[34:35], v62, v[34:35]
	v_add3_u32 v59, v60, v59, v66
	v_lshrrev_b32_e32 v66, 23, v36
	v_add_u32_e32 v65, -1, v65
	v_cmp_eq_u64_e64 s[22:23], v[40:41], v[48:49]
	v_mov_b32_e32 v45, v5
	v_add_u32_e32 v54, 19, v63
	v_add_u32_e32 v64, -1, v53
	v_lshlrev_b64 v[52:53], v52, 1
	v_add3_u32 v58, v61, v58, v66
	v_bfe_u32 v66, v34, 20, 1
	v_cndmask_b32_e64 v40, 0, v65, s[22:23]
	v_cmp_eq_u64_e64 s[22:23], v[42:43], v[50:51]
	v_mov_b32_e32 v47, v5
	v_lshlrev_b64 v[54:55], v54, 1
	v_bfe_u32 v67, v32, 20, 1
	v_add_u32_e32 v66, -1, v66
	v_cndmask_b32_e64 v41, 0, v64, s[22:23]
	v_cmp_eq_u64_e64 s[22:23], v[44:45], v[52:53]
	v_add_u32_e32 v67, -1, v67
	v_cndmask_b32_e64 v42, 0, v66, s[22:23]
	v_cmp_eq_u64_e64 s[22:23], v[46:47], v[54:55]
	v_cndmask_b32_e64 v43, 0, v67, s[22:23]
	v_add_u32_e32 v43, v43, v32
	v_and_b32_e32 v43, 0xfffff, v43
	v_add_u32_e32 v42, v42, v34
	v_add_co_u32_e64 v32, s[22:23], v43, v32
	v_and_b32_e32 v42, 0xfffff, v42
	v_addc_co_u32_e64 v33, s[22:23], 0, v33, s[22:23]
	v_lshrrev_b32_e32 v60, 23, v34
	v_add_u32_e32 v41, v41, v36
	v_add_co_u32_e64 v34, s[22:23], v42, v34
	v_and_b32_e32 v41, 0xfffff, v41
	v_addc_co_u32_e64 v35, s[22:23], 0, v35, s[22:23]
	v_add_u32_e32 v40, v40, v38
	v_add_co_u32_e64 v36, s[22:23], v41, v36
	v_and_b32_e32 v40, 0xfffff, v40
	v_addc_co_u32_e64 v37, s[22:23], 0, v37, s[22:23]
	v_add_co_u32_e64 v38, s[22:23], v40, v38
	v_add_u32_e32 v63, 6, v59
	v_addc_co_u32_e64 v39, s[22:23], 0, v39, s[22:23]
	v_add3_u32 v57, v62, v57, v60
	v_add_u32_e32 v60, 6, v56
	v_add_u32_e32 v62, 6, v58
	v_cmp_ne_u32_e64 s[22:23], 0, v63
	v_add_u32_e32 v40, 7, v59
	v_cmp_lt_u64_e64 s[38:39], s[68:69], v[38:39]
	v_add_u32_e32 v61, 6, v57
	v_cmp_ne_u32_e64 s[24:25], 0, v62
	v_cmp_ne_u32_e64 s[28:29], 0, v60
	v_add_u32_e32 v43, 7, v56
	v_cmp_lt_u64_e64 s[30:31], s[68:69], v[32:33]
	v_cndmask_b32_e64 v40, v63, v40, s[38:39]
	v_bfe_u32 v47, v38, 23, 1
	s_and_b64 s[22:23], s[78:79], s[22:23]
	v_cmp_ne_u32_e64 s[26:27], 0, v61
	v_add_u32_e32 v42, 7, v57
	v_cndmask_b32_e64 v43, v60, v43, s[30:31]
	v_cmp_lt_u64_e64 s[34:35], s[68:69], v[34:35]
	v_cmp_lt_u64_e64 s[36:37], s[68:69], v[36:37]
	v_bfe_u32 v44, v32, 23, 1
	v_cndmask_b32_e64 v40, v47, v40, s[22:23]
	s_and_b64 s[24:25], s[76:77], s[24:25]
	s_and_b64 s[28:29], s[70:71], s[28:29]
	;; [unrolled: 1-line block ×3, first 2 shown]
	v_add_u32_e32 v41, 7, v58
	v_cndmask_b32_e64 v42, v61, v42, s[34:35]
	v_bfe_u32 v45, v34, 23, 1
	s_and_b64 s[26:27], s[72:73], s[26:27]
	v_cndmask_b32_e64 v43, v44, v43, s[28:29]
	v_cndmask_b32_e64 v44, 0, 1, s[22:23]
	s_and_b64 s[22:23], s[24:25], s[36:37]
	v_cndmask_b32_e64 v41, v62, v41, s[36:37]
	v_bfe_u32 v46, v36, 23, 1
	v_cndmask_b32_e64 v42, v45, v42, s[26:27]
	v_cndmask_b32_e64 v45, 0, 1, s[22:23]
	s_and_b64 s[22:23], s[26:27], s[34:35]
	v_cndmask_b32_e64 v41, v46, v41, s[24:25]
	v_cndmask_b32_e64 v46, 0, 1, s[22:23]
	s_and_b64 s[22:23], s[28:29], s[30:31]
	v_and_b32_sdwa v7, v23, s47 dst_sel:DWORD dst_unused:UNUSED_PAD src0_sel:BYTE_3 src1_sel:DWORD
	v_cndmask_b32_e64 v47, 0, 1, s[22:23]
	s_and_b64 s[20:21], vcc, s[20:21]
	v_cmp_eq_u64_e32 vcc, 0, v[14:15]
	v_and_b32_sdwa v21, v25, s47 dst_sel:DWORD dst_unused:UNUSED_PAD src0_sel:BYTE_3 src1_sel:DWORD
	v_or_b32_e32 v26, 0x7e, v7
	v_cmp_eq_u32_e64 s[10:11], 0, v23
	v_lshrrev_b64 v[32:33], v47, v[32:33]
	s_and_b64 s[18:19], s[0:1], s[18:19]
	v_or_b32_sdwa v23, v23, s55 dst_sel:DWORD dst_unused:UNUSED_PAD src0_sel:BYTE_3 src1_sel:DWORD
	v_cmp_eq_u64_e64 s[0:1], 0, v[12:13]
	s_or_b64 vcc, s[20:21], vcc
	v_and_b32_sdwa v22, v27, s47 dst_sel:DWORD dst_unused:UNUSED_PAD src0_sel:BYTE_3 src1_sel:DWORD
	v_or_b32_e32 v29, 0x7e, v21
	v_cmp_eq_u32_e64 s[8:9], 0, v25
	v_lshrrev_b64 v[34:35], v46, v[34:35]
	v_lshrrev_b64 v[32:33], 20, v[32:33]
	v_cmp_gt_i32_e64 s[22:23], 16, v43
	s_and_b64 s[16:17], s[6:7], s[16:17]
	s_and_b64 s[14:15], s[12:13], s[14:15]
	v_or_b32_sdwa v25, v25, s55 dst_sel:DWORD dst_unused:UNUSED_PAD src0_sel:BYTE_3 src1_sel:DWORD
	v_cmp_eq_u64_e64 s[6:7], 0, v[10:11]
	v_cmp_eq_u64_e64 s[12:13], 0, v[4:5]
	v_cndmask_b32_e32 v4, v23, v26, vcc
	s_or_b64 vcc, s[18:19], s[0:1]
	s_and_b64 s[0:1], s[84:85], s[10:11]
	v_and_b32_sdwa v24, v28, s47 dst_sel:DWORD dst_unused:UNUSED_PAD src0_sel:BYTE_3 src1_sel:DWORD
	v_or_b32_e32 v30, 0x7e, v22
	v_cmp_eq_u32_e64 s[4:5], 0, v27
	v_lshrrev_b64 v[36:37], v45, v[36:37]
	v_lshrrev_b64 v[34:35], 20, v[34:35]
	v_cndmask_b32_e64 v33, 0, v33, s[22:23]
	v_cndmask_b32_e64 v32, 7, v32, s[22:23]
	v_cmp_gt_i32_e64 s[22:23], 16, v42
	v_or_b32_sdwa v27, v27, s55 dst_sel:DWORD dst_unused:UNUSED_PAD src0_sel:BYTE_3 src1_sel:DWORD
	v_cndmask_b32_e32 v10, v25, v29, vcc
	s_or_b64 vcc, s[16:17], s[6:7]
	v_cndmask_b32_e64 v4, v4, 0, s[0:1]
	s_and_b64 s[0:1], s[82:83], s[8:9]
	v_or_b32_e32 v31, 0x7e, v24
	v_cmp_eq_u32_e64 s[2:3], 0, v28
	v_lshrrev_b64 v[38:39], v44, v[38:39]
	v_lshrrev_b64 v[36:37], 20, v[36:37]
	v_cndmask_b32_e64 v35, 0, v35, s[22:23]
	v_cndmask_b32_e64 v34, 7, v34, s[22:23]
	v_cmp_gt_i32_e64 s[22:23], 16, v41
	v_cmp_eq_u32_e64 s[28:29], 0, v43
	v_cmp_eq_u64_e64 s[38:39], 0, v[32:33]
	v_or_b32_sdwa v28, v28, s55 dst_sel:DWORD dst_unused:UNUSED_PAD src0_sel:BYTE_3 src1_sel:DWORD
	v_cndmask_b32_e32 v11, v27, v30, vcc
	s_or_b64 vcc, s[14:15], s[12:13]
	v_cndmask_b32_e64 v10, v10, 0, s[0:1]
	s_and_b64 s[0:1], s[80:81], s[4:5]
	v_lshrrev_b64 v[38:39], 20, v[38:39]
	v_cndmask_b32_e64 v37, 0, v37, s[22:23]
	v_cndmask_b32_e64 v36, 7, v36, s[22:23]
	v_cmp_gt_i32_e64 s[22:23], 16, v40
	v_cmp_eq_u32_e64 s[26:27], 0, v42
	v_cmp_eq_u64_e64 s[36:37], 0, v[34:35]
	s_and_b64 s[28:29], s[28:29], s[38:39]
	v_cndmask_b32_e32 v12, v28, v31, vcc
	v_cndmask_b32_e64 v11, v11, 0, s[0:1]
	s_and_b64 s[0:1], s[74:75], s[2:3]
	v_cndmask_b32_e64 v39, 0, v39, s[22:23]
	v_cndmask_b32_e64 v38, 7, v38, s[22:23]
	v_cmp_eq_u32_e64 s[24:25], 0, v41
	v_cmp_eq_u64_e64 s[34:35], 0, v[36:37]
	s_and_b64 s[26:27], s[26:27], s[36:37]
	v_cndmask_b32_e64 v12, v12, 0, s[0:1]
	s_and_b64 vcc, s[70:71], s[28:29]
	v_cmp_eq_u32_e64 s[22:23], 0, v40
	v_cmp_eq_u64_e64 s[30:31], 0, v[38:39]
	s_and_b64 s[24:25], s[24:25], s[34:35]
	v_cndmask_b32_e32 v12, v12, v24, vcc
	s_and_b64 vcc, s[72:73], s[26:27]
	s_and_b64 s[22:23], s[22:23], s[30:31]
	v_min_i32_e32 v33, 15, v40
	v_cndmask_b32_e32 v11, v11, v22, vcc
	s_and_b64 vcc, s[76:77], s[24:25]
	s_xor_b64 s[30:31], s[22:23], -1
	v_min_i32_e32 v35, 15, v41
	v_lshl_or_b32 v33, v33, 3, v7
	v_cndmask_b32_e32 v10, v10, v21, vcc
	s_and_b64 vcc, s[78:79], s[22:23]
	s_xor_b64 s[34:35], s[24:25], -1
	v_lshl_or_b32 v35, v35, 3, v21
	v_and_or_b32 v33, v38, 7, v33
	v_cndmask_b32_e32 v4, v4, v7, vcc
	s_and_b64 vcc, s[78:79], s[30:31]
	v_min_i32_e32 v37, 15, v42
	v_and_or_b32 v35, v36, 7, v35
	v_cndmask_b32_e32 v4, v4, v33, vcc
	s_and_b64 vcc, s[76:77], s[34:35]
	s_xor_b64 s[36:37], s[26:27], -1
	v_min_i32_e32 v39, 15, v43
	v_lshl_or_b32 v37, v37, 3, v22
	v_cndmask_b32_e32 v7, v10, v35, vcc
	s_xor_b64 s[38:39], s[28:29], -1
	v_lshl_or_b32 v39, v39, 3, v24
	v_and_or_b32 v34, v34, 7, v37
	v_lshlrev_b16_e32 v7, 8, v7
	s_and_b64 vcc, s[72:73], s[36:37]
	v_and_or_b32 v32, v32, 7, v39
	v_or_b32_sdwa v4, v4, v7 dst_sel:DWORD dst_unused:UNUSED_PAD src0_sel:BYTE_0 src1_sel:DWORD
	v_cndmask_b32_e32 v7, v11, v34, vcc
	s_and_b64 vcc, s[70:71], s[38:39]
	v_cndmask_b32_e32 v10, v12, v32, vcc
	v_lshlrev_b16_e32 v10, 8, v10
	v_or_b32_sdwa v7, v7, v10 dst_sel:WORD_1 dst_unused:UNUSED_PAD src0_sel:BYTE_0 src1_sel:DWORD
	v_cmp_eq_u32_e32 vcc, 0, v20
	v_or_b32_sdwa v4, v4, v7 dst_sel:DWORD dst_unused:UNUSED_PAD src0_sel:WORD_0 src1_sel:DWORD
	s_or_b64 s[60:61], vcc, s[60:61]
	global_store_dword v[8:9], v4, off
	s_andn2_b64 exec, exec, s[60:61]
	s_cbranch_execnz .LBB18_781
; %bb.782:
	s_or_b64 exec, exec, s[60:61]
	v_cmp_ne_u32_e32 vcc, v1, v3
	v_readlane_b32 s60, v99, 3
	v_readlane_b32 s36, v99, 1
	v_add_u32_e32 v2, v2, v3
	s_orn2_b64 s[0:1], vcc, exec
	v_readlane_b32 s61, v99, 4
	v_readlane_b32 s62, v99, 5
	;; [unrolled: 1-line block ×7, first 2 shown]
	s_mov_b64 s[34:35], s[48:49]
	v_readlane_b32 s37, v99, 2
.LBB18_783:
	s_or_b64 exec, exec, s[56:57]
	s_and_b64 exec, exec, s[0:1]
	s_cbranch_execz .LBB18_802
; %bb.784:
	s_lshl_b64 s[0:1], s[50:51], 1
	s_add_u32 s0, s34, s0
	s_addc_u32 s1, s35, s1
	v_ashrrev_i32_e32 v3, 31, v2
	s_add_u32 s0, s60, s0
	v_lshlrev_b64 v[6:7], 1, v[2:3]
	s_addc_u32 s1, s61, s1
	s_lshl_b32 s19, s86, 1
	v_add_co_u32_e32 v6, vcc, s0, v6
	s_add_u32 s0, s50, s90
	v_mov_b32_e32 v1, s1
	s_addc_u32 s1, s51, s87
	s_add_u32 s0, s0, s59
	s_addc_u32 s1, s1, s58
	s_add_u32 s0, s64, s0
	v_addc_co_u32_e32 v7, vcc, v1, v7, vcc
	s_addc_u32 s1, s65, s1
	v_mov_b32_e32 v4, s1
	v_add_co_u32_e32 v1, vcc, s0, v2
	s_mov_b32 s18, 0
	v_mov_b32_e32 v5, 0
	v_addc_co_u32_e32 v3, vcc, v4, v3, vcc
	s_mov_b64 s[2:3], 0
	s_movk_i32 s20, 0x80
	s_mov_b64 s[4:5], 0x7f800000
	s_mov_b64 s[6:7], 0x43e00001
	s_movk_i32 s21, 0x7a
	s_mov_b64 s[8:9], 0xffffff
	s_movk_i32 s22, 0x7f
	v_mov_b32_e32 v10, 0xffffff82
	v_mov_b32_e32 v11, 0x78
	s_mov_b64 s[10:11], 0
	s_branch .LBB18_786
.LBB18_785:                             ;   in Loop: Header=BB18_786 Depth=1
	s_or_b64 exec, exec, s[0:1]
	v_mov_b32_e32 v4, s11
	v_add_co_u32_e32 v12, vcc, s10, v1
	s_add_u32 s10, s10, s86
	v_addc_co_u32_e32 v13, vcc, v3, v4, vcc
	v_add_u32_e32 v4, s10, v2
	s_addc_u32 s11, s11, 0
	v_cmp_le_i32_e32 vcc, s40, v4
	v_mov_b32_e32 v8, s18
	s_or_b64 s[2:3], vcc, s[2:3]
	v_add_co_u32_e32 v6, vcc, s19, v6
	v_addc_co_u32_e32 v7, vcc, v7, v8, vcc
	global_store_byte v[12:13], v9, off
	s_andn2_b64 exec, exec, s[2:3]
	s_cbranch_execz .LBB18_802
.LBB18_786:                             ; =>This Inner Loop Header: Depth=1
	global_load_ushort v4, v[6:7], off
	v_mov_b32_e32 v15, v5
	s_waitcnt vmcnt(0)
	v_cvt_f32_f16_e32 v4, v4
	v_div_scale_f32 v8, s[0:1], s95, s95, v4
	v_rcp_f32_e32 v9, v8
	v_div_scale_f32 v12, vcc, v4, s95, v4
	v_fma_f32 v13, -v8, v9, 1.0
	v_fmac_f32_e32 v9, v13, v9
	v_mul_f32_e32 v13, v12, v9
	v_fma_f32 v14, -v8, v13, v12
	v_fmac_f32_e32 v13, v14, v9
	v_fma_f32 v8, -v8, v13, v12
	v_div_fmas_f32 v8, v8, v9, v13
	v_div_fixup_f32 v4, v8, s95, v4
	v_cvt_f16_f32_e32 v4, v4
	v_cvt_f32_f16_e32 v8, v4
	v_and_b32_sdwa v12, v8, s20 dst_sel:DWORD dst_unused:UNUSED_PAD src0_sel:BYTE_3 src1_sel:DWORD
	v_and_b32_e32 v14, 0x7f800000, v8
	v_and_b32_e32 v4, 0x7fffff, v8
	v_or_b32_e32 v9, 0x7e, v12
	v_cmp_ne_u64_e32 vcc, s[4:5], v[14:15]
	s_and_saveexec_b64 s[0:1], vcc
	s_xor_b64 s[12:13], exec, s[0:1]
	s_cbranch_execz .LBB18_800
; %bb.787:                              ;   in Loop: Header=BB18_786 Depth=1
	v_and_b32_e32 v14, 0x7fffffff, v8
	v_mov_b32_e32 v15, v5
	v_cmp_gt_u64_e32 vcc, s[6:7], v[14:15]
	s_and_saveexec_b64 s[0:1], vcc
	s_xor_b64 s[14:15], exec, s[0:1]
	s_cbranch_execz .LBB18_799
; %bb.788:                              ;   in Loop: Header=BB18_786 Depth=1
	v_cmp_ne_u32_e32 vcc, 0, v8
	v_mov_b32_e32 v9, 0
	s_and_saveexec_b64 s[16:17], vcc
	s_cbranch_execz .LBB18_798
; %bb.789:                              ;   in Loop: Header=BB18_786 Depth=1
	v_bfe_u32 v8, v8, 23, 8
	v_sub_u32_e32 v13, 0x79, v8
	v_cmp_gt_u32_e32 vcc, s21, v8
	v_cndmask_b32_e32 v13, 0, v13, vcc
	v_cmp_eq_u32_e32 vcc, 0, v8
	v_cndmask_b32_e32 v13, v13, v11, vcc
	v_add_u32_e32 v9, 0xffffff81, v8
	v_or_b32_e32 v14, 0x800000, v4
	v_add_u32_e32 v8, 20, v13
	v_cndmask_b32_e32 v15, v9, v10, vcc
	v_cndmask_b32_e32 v4, v14, v4, vcc
	v_lshlrev_b64 v[8:9], v8, -1
	v_not_b32_e32 v8, v8
	v_lshrrev_b64 v[18:19], v13, v[4:5]
	v_not_b32_e32 v9, v9
	v_and_b32_e32 v8, v4, v8
	v_add_u32_e32 v14, 19, v13
	v_lshrrev_b32_e32 v4, 23, v18
	v_and_b32_e32 v9, 0, v9
	v_lshlrev_b64 v[16:17], v14, 1
	v_add3_u32 v14, v13, v15, v4
	v_bfe_u32 v4, v18, 20, 1
	v_add_u32_e32 v4, -1, v4
	v_cmp_eq_u64_e32 vcc, v[8:9], v[16:17]
	v_cndmask_b32_e32 v4, 0, v4, vcc
	v_add_u32_e32 v4, v4, v18
	v_and_b32_e32 v4, 0xfffff, v4
	v_add_co_u32_e32 v8, vcc, v4, v18
	v_add_u32_e32 v13, 6, v14
	v_addc_co_u32_e32 v9, vcc, 0, v19, vcc
	v_cmp_ne_u32_e32 vcc, 0, v13
                                        ; implicit-def: $vgpr4
	s_and_saveexec_b64 s[0:1], vcc
	s_xor_b64 s[0:1], exec, s[0:1]
; %bb.790:                              ;   in Loop: Header=BB18_786 Depth=1
	v_add_u32_e32 v4, 7, v14
	v_cmp_lt_u64_e32 vcc, s[8:9], v[8:9]
	v_cndmask_b32_e32 v4, v13, v4, vcc
	v_cndmask_b32_e64 v13, 0, 1, vcc
	v_lshrrev_b64 v[8:9], v13, v[8:9]
; %bb.791:                              ;   in Loop: Header=BB18_786 Depth=1
	s_andn2_saveexec_b64 s[0:1], s[0:1]
; %bb.792:                              ;   in Loop: Header=BB18_786 Depth=1
	v_bfe_u32 v4, v8, 23, 1
; %bb.793:                              ;   in Loop: Header=BB18_786 Depth=1
	s_or_b64 exec, exec, s[0:1]
	v_lshrrev_b64 v[8:9], 20, v[8:9]
	v_cmp_gt_i32_e32 vcc, 16, v4
	v_cndmask_b32_e32 v9, 0, v9, vcc
	v_cndmask_b32_e32 v8, 7, v8, vcc
	v_cmp_ne_u32_e32 vcc, 0, v4
	v_cmp_ne_u64_e64 s[0:1], 0, v[8:9]
	s_or_b64 s[0:1], vcc, s[0:1]
                                        ; implicit-def: $vgpr9
	s_and_saveexec_b64 s[24:25], s[0:1]
	s_xor_b64 s[0:1], exec, s[24:25]
; %bb.794:                              ;   in Loop: Header=BB18_786 Depth=1
	v_min_i32_e32 v4, 15, v4
	v_lshl_or_b32 v4, v4, 3, v12
	v_and_or_b32 v9, v8, 7, v4
                                        ; implicit-def: $vgpr12
; %bb.795:                              ;   in Loop: Header=BB18_786 Depth=1
	s_andn2_saveexec_b64 s[0:1], s[0:1]
; %bb.796:                              ;   in Loop: Header=BB18_786 Depth=1
	v_mov_b32_e32 v9, v12
; %bb.797:                              ;   in Loop: Header=BB18_786 Depth=1
	s_or_b64 exec, exec, s[0:1]
.LBB18_798:                             ;   in Loop: Header=BB18_786 Depth=1
	s_or_b64 exec, exec, s[16:17]
.LBB18_799:                             ;   in Loop: Header=BB18_786 Depth=1
	s_andn2_saveexec_b64 s[0:1], s[14:15]
	s_or_b64 exec, exec, s[0:1]
                                        ; implicit-def: $vgpr8
.LBB18_800:                             ;   in Loop: Header=BB18_786 Depth=1
	s_andn2_saveexec_b64 s[0:1], s[12:13]
	s_cbranch_execz .LBB18_785
; %bb.801:                              ;   in Loop: Header=BB18_786 Depth=1
	v_or_b32_sdwa v8, v8, s22 dst_sel:DWORD dst_unused:UNUSED_PAD src0_sel:BYTE_3 src1_sel:DWORD
	v_cmp_eq_u64_e32 vcc, 0, v[4:5]
	v_cndmask_b32_e32 v9, v8, v9, vcc
	s_branch .LBB18_785
.LBB18_802:
	s_or_b64 exec, exec, s[52:53]
	s_mov_b64 s[0:1], 0
.LBB18_803:
	s_and_b64 vcc, exec, s[0:1]
	s_cbranch_vccz .LBB18_936
; %bb.804:
	s_ashr_i32 s18, s42, 3
	v_cmp_gt_i32_e32 vcc, s18, v0
	s_and_saveexec_b64 s[2:3], vcc
	s_cbranch_execz .LBB18_935
; %bb.805:
	s_add_u32 s0, s90, s59
	s_addc_u32 s1, s87, s58
	s_add_u32 s0, s64, s0
	v_lshlrev_b32_e32 v1, 3, v0
	s_addc_u32 s1, s65, s1
	s_lshl_b32 s20, s86, 3
	v_mov_b32_e32 v2, s1
	v_add_co_u32_e32 v6, vcc, s0, v1
	s_add_u32 s0, s60, s34
	v_addc_co_u32_e32 v7, vcc, 0, v2, vcc
	v_lshlrev_b32_e32 v1, 4, v0
	s_addc_u32 s1, s61, s35
	s_mov_b32 s19, 0
	v_mov_b32_e32 v2, s1
	v_add_co_u32_e32 v8, vcc, s0, v1
	v_addc_co_u32_e32 v9, vcc, 0, v2, vcc
	s_lshl_b32 s21, s86, 4
	s_mov_b32 s22, s19
	s_mov_b64 s[4:5], 0
	v_mov_b32_e32 v11, 0
	s_movk_i32 s23, 0x80
	s_mov_b64 s[6:7], 0x7f800000
	s_mov_b64 s[8:9], 0x43e00001
	s_movk_i32 s24, 0x7a
	s_mov_b64 s[10:11], 0xffffff
	s_movk_i32 s25, 0x7f
	s_mov_b32 s26, 0xff00
	s_mov_b32 s27, 0x4020c0c
	v_mov_b32_e32 v1, 0xffffff82
	v_mov_b32_e32 v28, 0x78
	;; [unrolled: 1-line block ×3, first 2 shown]
	s_branch .LBB18_807
.LBB18_806:                             ;   in Loop: Header=BB18_807 Depth=1
	s_or_b64 exec, exec, s[0:1]
	v_lshlrev_b32_e32 v4, 16, v22
	v_lshlrev_b32_e32 v3, 24, v24
	v_and_b32_e32 v4, 0xff0000, v4
	v_or_b32_e32 v3, v3, v4
	v_lshlrev_b32_e32 v4, 8, v20
	v_and_b32_e32 v4, 0xff00, v4
	v_and_b32_e32 v5, 0xff, v18
	v_or3_b32 v3, v3, v4, v5
	v_lshlrev_b32_e32 v4, 16, v16
	v_lshlrev_b32_e32 v5, 8, v14
	v_perm_b32 v2, v2, v4, s27
	v_and_or_b32 v2, v5, s26, v2
	v_or_b32_sdwa v2, v2, v12 dst_sel:DWORD dst_unused:UNUSED_PAD src0_sel:DWORD src1_sel:BYTE_0
	global_store_dwordx2 v[6:7], v[2:3], off
	v_mov_b32_e32 v2, s19
	v_add_co_u32_e32 v6, vcc, s20, v6
	v_add_u32_e32 v29, s86, v29
	v_addc_co_u32_e32 v7, vcc, v7, v2, vcc
	v_cmp_le_i32_e32 vcc, s18, v29
	v_mov_b32_e32 v2, s22
	s_or_b64 s[4:5], vcc, s[4:5]
	v_add_co_u32_e32 v8, vcc, s21, v8
	v_addc_co_u32_e32 v9, vcc, v9, v2, vcc
	s_andn2_b64 exec, exec, s[4:5]
	s_cbranch_execz .LBB18_935
.LBB18_807:                             ; =>This Inner Loop Header: Depth=1
	global_load_dwordx4 v[2:5], v[8:9], off
	v_mov_b32_e32 v17, v11
	s_waitcnt vmcnt(0)
	v_cvt_f32_f16_e32 v10, v2
	v_div_scale_f32 v12, s[0:1], s95, s95, v10
	v_rcp_f32_e32 v13, v12
	v_div_scale_f32 v14, vcc, v10, s95, v10
	v_fma_f32 v15, -v12, v13, 1.0
	v_fmac_f32_e32 v13, v15, v13
	v_mul_f32_e32 v15, v14, v13
	v_fma_f32 v16, -v12, v15, v14
	v_fmac_f32_e32 v15, v16, v13
	v_fma_f32 v12, -v12, v15, v14
	v_div_fmas_f32 v12, v12, v13, v15
	v_div_fixup_f32 v10, v12, s95, v10
	v_cvt_f16_f32_e32 v10, v10
	v_cvt_f32_f16_e32 v15, v10
	v_and_b32_sdwa v14, v15, s23 dst_sel:DWORD dst_unused:UNUSED_PAD src0_sel:BYTE_3 src1_sel:DWORD
	v_and_b32_e32 v16, 0x7f800000, v15
	v_and_b32_e32 v10, 0x7fffff, v15
	v_or_b32_e32 v12, 0x7e, v14
	v_cmp_ne_u64_e32 vcc, s[6:7], v[16:17]
	s_and_saveexec_b64 s[0:1], vcc
	s_xor_b64 s[12:13], exec, s[0:1]
	s_cbranch_execz .LBB18_821
; %bb.808:                              ;   in Loop: Header=BB18_807 Depth=1
	v_and_b32_e32 v16, 0x7fffffff, v15
	v_mov_b32_e32 v17, v11
	v_cmp_gt_u64_e32 vcc, s[8:9], v[16:17]
	s_and_saveexec_b64 s[0:1], vcc
	s_xor_b64 s[14:15], exec, s[0:1]
	s_cbranch_execz .LBB18_820
; %bb.809:                              ;   in Loop: Header=BB18_807 Depth=1
	v_cmp_ne_u32_e32 vcc, 0, v15
	v_pk_mov_b32 v[12:13], 0, 0
	s_and_saveexec_b64 s[16:17], vcc
	s_cbranch_execz .LBB18_819
; %bb.810:                              ;   in Loop: Header=BB18_807 Depth=1
	v_bfe_u32 v12, v15, 23, 8
	v_sub_u32_e32 v15, 0x79, v12
	v_cmp_gt_u32_e32 vcc, s24, v12
	v_cndmask_b32_e32 v15, 0, v15, vcc
	v_cmp_eq_u32_e32 vcc, 0, v12
	v_cndmask_b32_e32 v15, v15, v28, vcc
	v_add_u32_e32 v13, 0xffffff81, v12
	v_or_b32_e32 v16, 0x800000, v10
	v_add_u32_e32 v12, 20, v15
	v_cndmask_b32_e32 v17, v13, v1, vcc
	v_cndmask_b32_e32 v10, v16, v10, vcc
	v_lshlrev_b64 v[12:13], v12, -1
	v_not_b32_e32 v12, v12
	v_lshrrev_b64 v[20:21], v15, v[10:11]
	v_not_b32_e32 v13, v13
	v_and_b32_e32 v12, v10, v12
	v_add_u32_e32 v16, 19, v15
	v_lshrrev_b32_e32 v10, 23, v20
	v_and_b32_e32 v13, 0, v13
	v_lshlrev_b64 v[18:19], v16, 1
	v_add3_u32 v16, v15, v17, v10
	v_bfe_u32 v10, v20, 20, 1
	v_add_u32_e32 v10, -1, v10
	v_cmp_eq_u64_e32 vcc, v[12:13], v[18:19]
	v_cndmask_b32_e32 v10, 0, v10, vcc
	v_add_u32_e32 v10, v10, v20
	v_and_b32_e32 v10, 0xfffff, v10
	v_add_co_u32_e32 v12, vcc, v10, v20
	v_add_u32_e32 v15, 6, v16
	v_addc_co_u32_e32 v13, vcc, 0, v21, vcc
	v_cmp_ne_u32_e32 vcc, 0, v15
                                        ; implicit-def: $vgpr10
	s_and_saveexec_b64 s[0:1], vcc
	s_xor_b64 s[0:1], exec, s[0:1]
; %bb.811:                              ;   in Loop: Header=BB18_807 Depth=1
	v_add_u32_e32 v10, 7, v16
	v_cmp_lt_u64_e32 vcc, s[10:11], v[12:13]
	v_cndmask_b32_e32 v10, v15, v10, vcc
	v_cndmask_b32_e64 v15, 0, 1, vcc
	v_lshrrev_b64 v[12:13], v15, v[12:13]
; %bb.812:                              ;   in Loop: Header=BB18_807 Depth=1
	s_andn2_saveexec_b64 s[0:1], s[0:1]
; %bb.813:                              ;   in Loop: Header=BB18_807 Depth=1
	v_bfe_u32 v10, v12, 23, 1
; %bb.814:                              ;   in Loop: Header=BB18_807 Depth=1
	s_or_b64 exec, exec, s[0:1]
	v_lshrrev_b64 v[12:13], 20, v[12:13]
	v_cmp_gt_i32_e32 vcc, 16, v10
	v_cndmask_b32_e32 v17, 0, v13, vcc
	v_cndmask_b32_e32 v16, 7, v12, vcc
	v_cmp_ne_u32_e32 vcc, 0, v10
	v_cmp_ne_u64_e64 s[0:1], 0, v[16:17]
	s_or_b64 s[0:1], vcc, s[0:1]
                                        ; implicit-def: $vgpr12_vgpr13
	s_and_saveexec_b64 s[28:29], s[0:1]
	s_xor_b64 s[0:1], exec, s[28:29]
; %bb.815:                              ;   in Loop: Header=BB18_807 Depth=1
	v_min_i32_e32 v10, 15, v10
	v_lshl_or_b32 v10, v10, 3, v14
	v_and_or_b32 v12, v16, 7, v10
                                        ; implicit-def: $vgpr14
; %bb.816:                              ;   in Loop: Header=BB18_807 Depth=1
	s_andn2_saveexec_b64 s[0:1], s[0:1]
; %bb.817:                              ;   in Loop: Header=BB18_807 Depth=1
	v_pk_mov_b32 v[12:13], v[14:15], v[14:15] op_sel:[0,1]
; %bb.818:                              ;   in Loop: Header=BB18_807 Depth=1
	s_or_b64 exec, exec, s[0:1]
.LBB18_819:                             ;   in Loop: Header=BB18_807 Depth=1
	s_or_b64 exec, exec, s[16:17]
.LBB18_820:                             ;   in Loop: Header=BB18_807 Depth=1
	s_andn2_saveexec_b64 s[0:1], s[14:15]
	s_or_b64 exec, exec, s[0:1]
                                        ; implicit-def: $vgpr15
.LBB18_821:                             ;   in Loop: Header=BB18_807 Depth=1
	s_andn2_saveexec_b64 s[0:1], s[12:13]
; %bb.822:                              ;   in Loop: Header=BB18_807 Depth=1
	v_or_b32_sdwa v13, v15, s25 dst_sel:DWORD dst_unused:UNUSED_PAD src0_sel:BYTE_3 src1_sel:DWORD
	v_cmp_eq_u64_e32 vcc, 0, v[10:11]
	v_cndmask_b32_e32 v12, v13, v12, vcc
; %bb.823:                              ;   in Loop: Header=BB18_807 Depth=1
	s_or_b64 exec, exec, s[0:1]
	v_cvt_f32_f16_sdwa v2, v2 dst_sel:DWORD dst_unused:UNUSED_PAD src0_sel:WORD_1
	v_mov_b32_e32 v17, v11
	v_div_scale_f32 v10, s[0:1], s95, s95, v2
	v_rcp_f32_e32 v13, v10
	v_div_scale_f32 v14, vcc, v2, s95, v2
	v_fma_f32 v15, -v10, v13, 1.0
	v_fmac_f32_e32 v13, v15, v13
	v_mul_f32_e32 v15, v14, v13
	v_fma_f32 v16, -v10, v15, v14
	v_fmac_f32_e32 v15, v16, v13
	v_fma_f32 v10, -v10, v15, v14
	v_div_fmas_f32 v10, v10, v13, v15
	v_div_fixup_f32 v2, v10, s95, v2
	v_cvt_f16_f32_e32 v2, v2
	v_cvt_f32_f16_e32 v13, v2
	v_and_b32_sdwa v2, v13, s23 dst_sel:DWORD dst_unused:UNUSED_PAD src0_sel:BYTE_3 src1_sel:DWORD
	v_and_b32_e32 v16, 0x7f800000, v13
	v_and_b32_e32 v10, 0x7fffff, v13
	v_or_b32_e32 v14, 0x7e, v2
	v_cmp_ne_u64_e32 vcc, s[6:7], v[16:17]
	s_and_saveexec_b64 s[0:1], vcc
	s_xor_b64 s[12:13], exec, s[0:1]
	s_cbranch_execz .LBB18_837
; %bb.824:                              ;   in Loop: Header=BB18_807 Depth=1
	v_and_b32_e32 v16, 0x7fffffff, v13
	v_mov_b32_e32 v17, v11
	v_cmp_gt_u64_e32 vcc, s[8:9], v[16:17]
	s_and_saveexec_b64 s[0:1], vcc
	s_xor_b64 s[14:15], exec, s[0:1]
	s_cbranch_execz .LBB18_836
; %bb.825:                              ;   in Loop: Header=BB18_807 Depth=1
	v_cmp_ne_u32_e32 vcc, 0, v13
	v_pk_mov_b32 v[14:15], 0, 0
	s_and_saveexec_b64 s[16:17], vcc
	s_cbranch_execz .LBB18_835
; %bb.826:                              ;   in Loop: Header=BB18_807 Depth=1
	v_bfe_u32 v13, v13, 23, 8
	v_sub_u32_e32 v15, 0x79, v13
	v_cmp_gt_u32_e32 vcc, s24, v13
	v_cndmask_b32_e32 v15, 0, v15, vcc
	v_cmp_eq_u32_e32 vcc, 0, v13
	v_add_u32_e32 v14, 0xffffff81, v13
	v_cndmask_b32_e32 v17, v15, v28, vcc
	v_or_b32_e32 v16, 0x800000, v10
	v_cndmask_b32_e32 v13, v14, v1, vcc
	v_add_u32_e32 v14, 20, v17
	v_cndmask_b32_e32 v10, v16, v10, vcc
	v_lshlrev_b64 v[14:15], v14, -1
	v_not_b32_e32 v14, v14
	v_lshrrev_b64 v[20:21], v17, v[10:11]
	v_not_b32_e32 v15, v15
	v_and_b32_e32 v14, v10, v14
	v_add_u32_e32 v16, 19, v17
	v_lshrrev_b32_e32 v10, 23, v20
	v_and_b32_e32 v15, 0, v15
	v_lshlrev_b64 v[18:19], v16, 1
	v_add3_u32 v16, v17, v13, v10
	v_bfe_u32 v10, v20, 20, 1
	v_add_u32_e32 v10, -1, v10
	v_cmp_eq_u64_e32 vcc, v[14:15], v[18:19]
	v_cndmask_b32_e32 v10, 0, v10, vcc
	v_add_u32_e32 v10, v10, v20
	v_and_b32_e32 v10, 0xfffff, v10
	v_add_co_u32_e32 v14, vcc, v10, v20
	v_add_u32_e32 v13, 6, v16
	v_addc_co_u32_e32 v15, vcc, 0, v21, vcc
	v_cmp_ne_u32_e32 vcc, 0, v13
                                        ; implicit-def: $vgpr10
	s_and_saveexec_b64 s[0:1], vcc
	s_xor_b64 s[0:1], exec, s[0:1]
; %bb.827:                              ;   in Loop: Header=BB18_807 Depth=1
	v_add_u32_e32 v10, 7, v16
	v_cmp_lt_u64_e32 vcc, s[10:11], v[14:15]
	v_cndmask_b32_e32 v10, v13, v10, vcc
	v_cndmask_b32_e64 v13, 0, 1, vcc
	v_lshrrev_b64 v[14:15], v13, v[14:15]
; %bb.828:                              ;   in Loop: Header=BB18_807 Depth=1
	s_andn2_saveexec_b64 s[0:1], s[0:1]
; %bb.829:                              ;   in Loop: Header=BB18_807 Depth=1
	v_bfe_u32 v10, v14, 23, 1
; %bb.830:                              ;   in Loop: Header=BB18_807 Depth=1
	s_or_b64 exec, exec, s[0:1]
	v_lshrrev_b64 v[14:15], 20, v[14:15]
	v_cmp_gt_i32_e32 vcc, 16, v10
	v_cndmask_b32_e32 v17, 0, v15, vcc
	v_cndmask_b32_e32 v16, 7, v14, vcc
	v_cmp_ne_u32_e32 vcc, 0, v10
	v_cmp_ne_u64_e64 s[0:1], 0, v[16:17]
	s_or_b64 s[0:1], vcc, s[0:1]
                                        ; implicit-def: $vgpr14_vgpr15
	s_and_saveexec_b64 s[28:29], s[0:1]
	s_xor_b64 s[0:1], exec, s[28:29]
; %bb.831:                              ;   in Loop: Header=BB18_807 Depth=1
	v_min_i32_e32 v10, 15, v10
	v_lshl_or_b32 v2, v10, 3, v2
	v_and_or_b32 v14, v16, 7, v2
                                        ; implicit-def: $vgpr2
; %bb.832:                              ;   in Loop: Header=BB18_807 Depth=1
	s_andn2_saveexec_b64 s[0:1], s[0:1]
; %bb.833:                              ;   in Loop: Header=BB18_807 Depth=1
	v_pk_mov_b32 v[14:15], v[2:3], v[2:3] op_sel:[0,1]
; %bb.834:                              ;   in Loop: Header=BB18_807 Depth=1
	s_or_b64 exec, exec, s[0:1]
.LBB18_835:                             ;   in Loop: Header=BB18_807 Depth=1
	s_or_b64 exec, exec, s[16:17]
.LBB18_836:                             ;   in Loop: Header=BB18_807 Depth=1
	s_andn2_saveexec_b64 s[0:1], s[14:15]
	s_or_b64 exec, exec, s[0:1]
                                        ; implicit-def: $vgpr13
.LBB18_837:                             ;   in Loop: Header=BB18_807 Depth=1
	s_andn2_saveexec_b64 s[0:1], s[12:13]
; %bb.838:                              ;   in Loop: Header=BB18_807 Depth=1
	v_or_b32_sdwa v2, v13, s25 dst_sel:DWORD dst_unused:UNUSED_PAD src0_sel:BYTE_3 src1_sel:DWORD
	v_cmp_eq_u64_e32 vcc, 0, v[10:11]
	v_cndmask_b32_e32 v14, v2, v14, vcc
; %bb.839:                              ;   in Loop: Header=BB18_807 Depth=1
	s_or_b64 exec, exec, s[0:1]
	v_cvt_f32_f16_e32 v2, v3
	v_mov_b32_e32 v19, v11
	v_div_scale_f32 v10, s[0:1], s95, s95, v2
	v_rcp_f32_e32 v13, v10
	v_div_scale_f32 v15, vcc, v2, s95, v2
	v_fma_f32 v16, -v10, v13, 1.0
	v_fmac_f32_e32 v13, v16, v13
	v_mul_f32_e32 v16, v15, v13
	v_fma_f32 v17, -v10, v16, v15
	v_fmac_f32_e32 v16, v17, v13
	v_fma_f32 v10, -v10, v16, v15
	v_div_fmas_f32 v10, v10, v13, v16
	v_div_fixup_f32 v2, v10, s95, v2
	v_cvt_f16_f32_e32 v2, v2
	v_cvt_f32_f16_e32 v13, v2
	v_and_b32_sdwa v2, v13, s23 dst_sel:DWORD dst_unused:UNUSED_PAD src0_sel:BYTE_3 src1_sel:DWORD
	v_and_b32_e32 v18, 0x7f800000, v13
	v_and_b32_e32 v10, 0x7fffff, v13
	v_or_b32_e32 v16, 0x7e, v2
	v_cmp_ne_u64_e32 vcc, s[6:7], v[18:19]
	s_and_saveexec_b64 s[0:1], vcc
	s_xor_b64 s[12:13], exec, s[0:1]
	s_cbranch_execz .LBB18_853
; %bb.840:                              ;   in Loop: Header=BB18_807 Depth=1
	v_and_b32_e32 v18, 0x7fffffff, v13
	v_mov_b32_e32 v19, v11
	v_cmp_gt_u64_e32 vcc, s[8:9], v[18:19]
	s_and_saveexec_b64 s[0:1], vcc
	s_xor_b64 s[14:15], exec, s[0:1]
	s_cbranch_execz .LBB18_852
; %bb.841:                              ;   in Loop: Header=BB18_807 Depth=1
	v_cmp_ne_u32_e32 vcc, 0, v13
	v_pk_mov_b32 v[16:17], 0, 0
	s_and_saveexec_b64 s[16:17], vcc
	s_cbranch_execz .LBB18_851
; %bb.842:                              ;   in Loop: Header=BB18_807 Depth=1
	v_bfe_u32 v13, v13, 23, 8
	v_sub_u32_e32 v16, 0x79, v13
	v_cmp_gt_u32_e32 vcc, s24, v13
	v_add_u32_e32 v15, 0xffffff81, v13
	v_cndmask_b32_e32 v16, 0, v16, vcc
	v_cmp_eq_u32_e32 vcc, 0, v13
	v_cndmask_b32_e32 v13, v15, v1, vcc
	v_cndmask_b32_e32 v15, v16, v28, vcc
	v_or_b32_e32 v17, 0x800000, v10
	v_add_u32_e32 v16, 20, v15
	v_cndmask_b32_e32 v10, v17, v10, vcc
	v_lshlrev_b64 v[16:17], v16, -1
	v_not_b32_e32 v16, v16
	v_lshrrev_b64 v[20:21], v15, v[10:11]
	v_not_b32_e32 v17, v17
	v_and_b32_e32 v16, v10, v16
	v_add_u32_e32 v18, 19, v15
	v_lshrrev_b32_e32 v10, 23, v20
	v_and_b32_e32 v17, 0, v17
	v_lshlrev_b64 v[18:19], v18, 1
	v_add3_u32 v15, v15, v13, v10
	v_bfe_u32 v10, v20, 20, 1
	v_add_u32_e32 v10, -1, v10
	v_cmp_eq_u64_e32 vcc, v[16:17], v[18:19]
	v_cndmask_b32_e32 v10, 0, v10, vcc
	v_add_u32_e32 v10, v10, v20
	v_and_b32_e32 v10, 0xfffff, v10
	v_add_co_u32_e32 v16, vcc, v10, v20
	v_add_u32_e32 v13, 6, v15
	v_addc_co_u32_e32 v17, vcc, 0, v21, vcc
	v_cmp_ne_u32_e32 vcc, 0, v13
                                        ; implicit-def: $vgpr10
	s_and_saveexec_b64 s[0:1], vcc
	s_xor_b64 s[0:1], exec, s[0:1]
; %bb.843:                              ;   in Loop: Header=BB18_807 Depth=1
	v_add_u32_e32 v10, 7, v15
	v_cmp_lt_u64_e32 vcc, s[10:11], v[16:17]
	v_cndmask_b32_e32 v10, v13, v10, vcc
	v_cndmask_b32_e64 v13, 0, 1, vcc
	v_lshrrev_b64 v[16:17], v13, v[16:17]
; %bb.844:                              ;   in Loop: Header=BB18_807 Depth=1
	s_andn2_saveexec_b64 s[0:1], s[0:1]
; %bb.845:                              ;   in Loop: Header=BB18_807 Depth=1
	v_bfe_u32 v10, v16, 23, 1
; %bb.846:                              ;   in Loop: Header=BB18_807 Depth=1
	s_or_b64 exec, exec, s[0:1]
	v_lshrrev_b64 v[16:17], 20, v[16:17]
	v_cmp_gt_i32_e32 vcc, 16, v10
	v_cndmask_b32_e32 v19, 0, v17, vcc
	v_cndmask_b32_e32 v18, 7, v16, vcc
	v_cmp_ne_u32_e32 vcc, 0, v10
	v_cmp_ne_u64_e64 s[0:1], 0, v[18:19]
	s_or_b64 s[0:1], vcc, s[0:1]
                                        ; implicit-def: $vgpr16_vgpr17
	s_and_saveexec_b64 s[28:29], s[0:1]
	s_xor_b64 s[0:1], exec, s[28:29]
; %bb.847:                              ;   in Loop: Header=BB18_807 Depth=1
	v_min_i32_e32 v10, 15, v10
	v_lshl_or_b32 v2, v10, 3, v2
	v_and_or_b32 v16, v18, 7, v2
                                        ; implicit-def: $vgpr2
; %bb.848:                              ;   in Loop: Header=BB18_807 Depth=1
	s_andn2_saveexec_b64 s[0:1], s[0:1]
; %bb.849:                              ;   in Loop: Header=BB18_807 Depth=1
	v_pk_mov_b32 v[16:17], v[2:3], v[2:3] op_sel:[0,1]
; %bb.850:                              ;   in Loop: Header=BB18_807 Depth=1
	s_or_b64 exec, exec, s[0:1]
.LBB18_851:                             ;   in Loop: Header=BB18_807 Depth=1
	s_or_b64 exec, exec, s[16:17]
.LBB18_852:                             ;   in Loop: Header=BB18_807 Depth=1
	s_andn2_saveexec_b64 s[0:1], s[14:15]
	s_or_b64 exec, exec, s[0:1]
                                        ; implicit-def: $vgpr13
.LBB18_853:                             ;   in Loop: Header=BB18_807 Depth=1
	s_andn2_saveexec_b64 s[0:1], s[12:13]
; %bb.854:                              ;   in Loop: Header=BB18_807 Depth=1
	v_or_b32_sdwa v2, v13, s25 dst_sel:DWORD dst_unused:UNUSED_PAD src0_sel:BYTE_3 src1_sel:DWORD
	v_cmp_eq_u64_e32 vcc, 0, v[10:11]
	v_cndmask_b32_e32 v16, v2, v16, vcc
; %bb.855:                              ;   in Loop: Header=BB18_807 Depth=1
	s_or_b64 exec, exec, s[0:1]
	v_cvt_f32_f16_sdwa v2, v3 dst_sel:DWORD dst_unused:UNUSED_PAD src0_sel:WORD_1
	v_mov_b32_e32 v21, v11
	v_div_scale_f32 v3, s[0:1], s95, s95, v2
	v_rcp_f32_e32 v10, v3
	v_div_scale_f32 v13, vcc, v2, s95, v2
	v_fma_f32 v15, -v3, v10, 1.0
	v_fmac_f32_e32 v10, v15, v10
	v_mul_f32_e32 v15, v13, v10
	v_fma_f32 v17, -v3, v15, v13
	v_fmac_f32_e32 v15, v17, v10
	v_fma_f32 v3, -v3, v15, v13
	v_div_fmas_f32 v3, v3, v10, v15
	v_div_fixup_f32 v2, v3, s95, v2
	v_cvt_f16_f32_e32 v2, v2
	v_cvt_f32_f16_e32 v13, v2
	v_and_b32_sdwa v18, v13, s23 dst_sel:DWORD dst_unused:UNUSED_PAD src0_sel:BYTE_3 src1_sel:DWORD
	v_and_b32_e32 v20, 0x7f800000, v13
	v_and_b32_e32 v10, 0x7fffff, v13
	v_or_b32_e32 v2, 0x7e, v18
	v_cmp_ne_u64_e32 vcc, s[6:7], v[20:21]
	s_and_saveexec_b64 s[0:1], vcc
	s_xor_b64 s[12:13], exec, s[0:1]
	s_cbranch_execz .LBB18_869
; %bb.856:                              ;   in Loop: Header=BB18_807 Depth=1
	v_and_b32_e32 v20, 0x7fffffff, v13
	v_mov_b32_e32 v21, v11
	v_cmp_gt_u64_e32 vcc, s[8:9], v[20:21]
	s_and_saveexec_b64 s[0:1], vcc
	s_xor_b64 s[14:15], exec, s[0:1]
	s_cbranch_execz .LBB18_868
; %bb.857:                              ;   in Loop: Header=BB18_807 Depth=1
	v_cmp_ne_u32_e32 vcc, 0, v13
	v_pk_mov_b32 v[2:3], 0, 0
	s_and_saveexec_b64 s[16:17], vcc
	s_cbranch_execz .LBB18_867
; %bb.858:                              ;   in Loop: Header=BB18_807 Depth=1
	v_bfe_u32 v2, v13, 23, 8
	v_sub_u32_e32 v13, 0x79, v2
	v_cmp_gt_u32_e32 vcc, s24, v2
	v_cndmask_b32_e32 v13, 0, v13, vcc
	v_cmp_eq_u32_e32 vcc, 0, v2
	v_cndmask_b32_e32 v13, v13, v28, vcc
	v_add_u32_e32 v3, 0xffffff81, v2
	v_or_b32_e32 v15, 0x800000, v10
	v_add_u32_e32 v2, 20, v13
	v_cndmask_b32_e32 v17, v3, v1, vcc
	v_cndmask_b32_e32 v10, v15, v10, vcc
	v_lshlrev_b64 v[2:3], v2, -1
	v_not_b32_e32 v2, v2
	v_lshrrev_b64 v[22:23], v13, v[10:11]
	v_not_b32_e32 v3, v3
	v_and_b32_e32 v2, v10, v2
	v_add_u32_e32 v15, 19, v13
	v_lshrrev_b32_e32 v10, 23, v22
	v_and_b32_e32 v3, 0, v3
	v_lshlrev_b64 v[20:21], v15, 1
	v_add3_u32 v15, v13, v17, v10
	v_bfe_u32 v10, v22, 20, 1
	v_add_u32_e32 v10, -1, v10
	v_cmp_eq_u64_e32 vcc, v[2:3], v[20:21]
	v_cndmask_b32_e32 v2, 0, v10, vcc
	v_add_u32_e32 v2, v2, v22
	v_and_b32_e32 v2, 0xfffff, v2
	v_add_co_u32_e32 v2, vcc, v2, v22
	v_add_u32_e32 v13, 6, v15
	v_addc_co_u32_e32 v3, vcc, 0, v23, vcc
	v_cmp_ne_u32_e32 vcc, 0, v13
                                        ; implicit-def: $vgpr10
	s_and_saveexec_b64 s[0:1], vcc
	s_xor_b64 s[0:1], exec, s[0:1]
; %bb.859:                              ;   in Loop: Header=BB18_807 Depth=1
	v_add_u32_e32 v10, 7, v15
	v_cmp_lt_u64_e32 vcc, s[10:11], v[2:3]
	v_cndmask_b32_e32 v10, v13, v10, vcc
	v_cndmask_b32_e64 v13, 0, 1, vcc
	v_lshrrev_b64 v[2:3], v13, v[2:3]
; %bb.860:                              ;   in Loop: Header=BB18_807 Depth=1
	s_andn2_saveexec_b64 s[0:1], s[0:1]
; %bb.861:                              ;   in Loop: Header=BB18_807 Depth=1
	v_bfe_u32 v10, v2, 23, 1
; %bb.862:                              ;   in Loop: Header=BB18_807 Depth=1
	s_or_b64 exec, exec, s[0:1]
	v_lshrrev_b64 v[2:3], 20, v[2:3]
	v_cmp_gt_i32_e32 vcc, 16, v10
	v_cndmask_b32_e32 v21, 0, v3, vcc
	v_cndmask_b32_e32 v20, 7, v2, vcc
	v_cmp_ne_u32_e32 vcc, 0, v10
	v_cmp_ne_u64_e64 s[0:1], 0, v[20:21]
	s_or_b64 s[0:1], vcc, s[0:1]
                                        ; implicit-def: $vgpr2_vgpr3
	s_and_saveexec_b64 s[28:29], s[0:1]
	s_xor_b64 s[0:1], exec, s[28:29]
; %bb.863:                              ;   in Loop: Header=BB18_807 Depth=1
	v_min_i32_e32 v2, 15, v10
	v_lshl_or_b32 v2, v2, 3, v18
	v_and_or_b32 v2, v20, 7, v2
                                        ; implicit-def: $vgpr18
; %bb.864:                              ;   in Loop: Header=BB18_807 Depth=1
	s_andn2_saveexec_b64 s[0:1], s[0:1]
; %bb.865:                              ;   in Loop: Header=BB18_807 Depth=1
	v_pk_mov_b32 v[2:3], v[18:19], v[18:19] op_sel:[0,1]
; %bb.866:                              ;   in Loop: Header=BB18_807 Depth=1
	s_or_b64 exec, exec, s[0:1]
.LBB18_867:                             ;   in Loop: Header=BB18_807 Depth=1
	s_or_b64 exec, exec, s[16:17]
.LBB18_868:                             ;   in Loop: Header=BB18_807 Depth=1
	s_andn2_saveexec_b64 s[0:1], s[14:15]
	s_or_b64 exec, exec, s[0:1]
                                        ; implicit-def: $vgpr13
.LBB18_869:                             ;   in Loop: Header=BB18_807 Depth=1
	s_andn2_saveexec_b64 s[0:1], s[12:13]
; %bb.870:                              ;   in Loop: Header=BB18_807 Depth=1
	v_or_b32_sdwa v3, v13, s25 dst_sel:DWORD dst_unused:UNUSED_PAD src0_sel:BYTE_3 src1_sel:DWORD
	v_cmp_eq_u64_e32 vcc, 0, v[10:11]
	v_cndmask_b32_e32 v2, v3, v2, vcc
; %bb.871:                              ;   in Loop: Header=BB18_807 Depth=1
	s_or_b64 exec, exec, s[0:1]
	v_cvt_f32_f16_e32 v3, v4
	v_mov_b32_e32 v23, v11
	v_div_scale_f32 v10, s[0:1], s95, s95, v3
	v_rcp_f32_e32 v13, v10
	v_div_scale_f32 v15, vcc, v3, s95, v3
	v_fma_f32 v17, -v10, v13, 1.0
	v_fmac_f32_e32 v13, v17, v13
	v_mul_f32_e32 v17, v15, v13
	v_fma_f32 v18, -v10, v17, v15
	v_fmac_f32_e32 v17, v18, v13
	v_fma_f32 v10, -v10, v17, v15
	v_div_fmas_f32 v10, v10, v13, v17
	v_div_fixup_f32 v3, v10, s95, v3
	v_cvt_f16_f32_e32 v3, v3
	v_cvt_f32_f16_e32 v3, v3
	v_and_b32_sdwa v20, v3, s23 dst_sel:DWORD dst_unused:UNUSED_PAD src0_sel:BYTE_3 src1_sel:DWORD
	v_and_b32_e32 v22, 0x7f800000, v3
	v_and_b32_e32 v10, 0x7fffff, v3
	v_or_b32_e32 v18, 0x7e, v20
	v_cmp_ne_u64_e32 vcc, s[6:7], v[22:23]
	s_and_saveexec_b64 s[0:1], vcc
	s_xor_b64 s[12:13], exec, s[0:1]
	s_cbranch_execz .LBB18_885
; %bb.872:                              ;   in Loop: Header=BB18_807 Depth=1
	v_and_b32_e32 v22, 0x7fffffff, v3
	v_mov_b32_e32 v23, v11
	v_cmp_gt_u64_e32 vcc, s[8:9], v[22:23]
	s_and_saveexec_b64 s[0:1], vcc
	s_xor_b64 s[14:15], exec, s[0:1]
	s_cbranch_execz .LBB18_884
; %bb.873:                              ;   in Loop: Header=BB18_807 Depth=1
	v_cmp_ne_u32_e32 vcc, 0, v3
	v_pk_mov_b32 v[18:19], 0, 0
	s_and_saveexec_b64 s[16:17], vcc
	s_cbranch_execz .LBB18_883
; %bb.874:                              ;   in Loop: Header=BB18_807 Depth=1
	v_bfe_u32 v3, v3, 23, 8
	v_sub_u32_e32 v15, 0x79, v3
	v_cmp_gt_u32_e32 vcc, s24, v3
	v_add_u32_e32 v13, 0xffffff81, v3
	v_cndmask_b32_e32 v15, 0, v15, vcc
	v_cmp_eq_u32_e32 vcc, 0, v3
	v_cndmask_b32_e32 v3, v13, v1, vcc
	v_cndmask_b32_e32 v13, v15, v28, vcc
	v_or_b32_e32 v17, 0x800000, v10
	v_add_u32_e32 v15, 20, v13
	v_cndmask_b32_e32 v10, v17, v10, vcc
	v_lshlrev_b64 v[18:19], v15, -1
	v_not_b32_e32 v15, v19
	v_not_b32_e32 v17, v18
	v_lshrrev_b64 v[24:25], v13, v[10:11]
	v_and_b32_e32 v19, 0, v15
	v_and_b32_e32 v18, v10, v17
	v_add_u32_e32 v15, 19, v13
	v_lshrrev_b32_e32 v10, 23, v24
	v_lshlrev_b64 v[22:23], v15, 1
	v_add3_u32 v13, v13, v3, v10
	v_bfe_u32 v3, v24, 20, 1
	v_add_u32_e32 v3, -1, v3
	v_cmp_eq_u64_e32 vcc, v[18:19], v[22:23]
	v_cndmask_b32_e32 v3, 0, v3, vcc
	v_add_u32_e32 v3, v3, v24
	v_and_b32_e32 v3, 0xfffff, v3
	v_add_co_u32_e32 v18, vcc, v3, v24
	v_add_u32_e32 v10, 6, v13
	v_addc_co_u32_e32 v19, vcc, 0, v25, vcc
	v_cmp_ne_u32_e32 vcc, 0, v10
                                        ; implicit-def: $vgpr3
	s_and_saveexec_b64 s[0:1], vcc
	s_xor_b64 s[0:1], exec, s[0:1]
; %bb.875:                              ;   in Loop: Header=BB18_807 Depth=1
	v_add_u32_e32 v3, 7, v13
	v_cmp_lt_u64_e32 vcc, s[10:11], v[18:19]
	v_cndmask_b32_e32 v3, v10, v3, vcc
	v_cndmask_b32_e64 v10, 0, 1, vcc
	v_lshrrev_b64 v[18:19], v10, v[18:19]
; %bb.876:                              ;   in Loop: Header=BB18_807 Depth=1
	s_andn2_saveexec_b64 s[0:1], s[0:1]
; %bb.877:                              ;   in Loop: Header=BB18_807 Depth=1
	v_bfe_u32 v3, v18, 23, 1
; %bb.878:                              ;   in Loop: Header=BB18_807 Depth=1
	s_or_b64 exec, exec, s[0:1]
	v_lshrrev_b64 v[18:19], 20, v[18:19]
	v_cmp_gt_i32_e32 vcc, 16, v3
	v_cndmask_b32_e32 v23, 0, v19, vcc
	v_cndmask_b32_e32 v22, 7, v18, vcc
	v_cmp_ne_u32_e32 vcc, 0, v3
	v_cmp_ne_u64_e64 s[0:1], 0, v[22:23]
	s_or_b64 s[0:1], vcc, s[0:1]
                                        ; implicit-def: $vgpr18_vgpr19
	s_and_saveexec_b64 s[28:29], s[0:1]
	s_xor_b64 s[0:1], exec, s[28:29]
; %bb.879:                              ;   in Loop: Header=BB18_807 Depth=1
	v_min_i32_e32 v3, 15, v3
	v_lshl_or_b32 v3, v3, 3, v20
	v_and_or_b32 v18, v22, 7, v3
                                        ; implicit-def: $vgpr20
; %bb.880:                              ;   in Loop: Header=BB18_807 Depth=1
	s_andn2_saveexec_b64 s[0:1], s[0:1]
; %bb.881:                              ;   in Loop: Header=BB18_807 Depth=1
	v_pk_mov_b32 v[18:19], v[20:21], v[20:21] op_sel:[0,1]
; %bb.882:                              ;   in Loop: Header=BB18_807 Depth=1
	s_or_b64 exec, exec, s[0:1]
.LBB18_883:                             ;   in Loop: Header=BB18_807 Depth=1
	s_or_b64 exec, exec, s[16:17]
.LBB18_884:                             ;   in Loop: Header=BB18_807 Depth=1
	s_andn2_saveexec_b64 s[0:1], s[14:15]
	s_or_b64 exec, exec, s[0:1]
                                        ; implicit-def: $vgpr3
.LBB18_885:                             ;   in Loop: Header=BB18_807 Depth=1
	s_andn2_saveexec_b64 s[0:1], s[12:13]
; %bb.886:                              ;   in Loop: Header=BB18_807 Depth=1
	v_or_b32_sdwa v3, v3, s25 dst_sel:DWORD dst_unused:UNUSED_PAD src0_sel:BYTE_3 src1_sel:DWORD
	v_cmp_eq_u64_e32 vcc, 0, v[10:11]
	v_cndmask_b32_e32 v18, v3, v18, vcc
; %bb.887:                              ;   in Loop: Header=BB18_807 Depth=1
	s_or_b64 exec, exec, s[0:1]
	v_cvt_f32_f16_sdwa v3, v4 dst_sel:DWORD dst_unused:UNUSED_PAD src0_sel:WORD_1
	v_mov_b32_e32 v23, v11
	v_div_scale_f32 v4, s[0:1], s95, s95, v3
	v_rcp_f32_e32 v10, v4
	v_div_scale_f32 v13, vcc, v3, s95, v3
	v_fma_f32 v15, -v4, v10, 1.0
	v_fmac_f32_e32 v10, v15, v10
	v_mul_f32_e32 v15, v13, v10
	v_fma_f32 v17, -v4, v15, v13
	v_fmac_f32_e32 v15, v17, v10
	v_fma_f32 v4, -v4, v15, v13
	v_div_fmas_f32 v4, v4, v10, v15
	v_div_fixup_f32 v3, v4, s95, v3
	v_cvt_f16_f32_e32 v3, v3
	v_cvt_f32_f16_e32 v3, v3
	v_and_b32_sdwa v4, v3, s23 dst_sel:DWORD dst_unused:UNUSED_PAD src0_sel:BYTE_3 src1_sel:DWORD
	v_and_b32_e32 v22, 0x7f800000, v3
	v_and_b32_e32 v10, 0x7fffff, v3
	v_or_b32_e32 v20, 0x7e, v4
	v_cmp_ne_u64_e32 vcc, s[6:7], v[22:23]
	s_and_saveexec_b64 s[0:1], vcc
	s_xor_b64 s[12:13], exec, s[0:1]
	s_cbranch_execz .LBB18_901
; %bb.888:                              ;   in Loop: Header=BB18_807 Depth=1
	v_and_b32_e32 v22, 0x7fffffff, v3
	v_mov_b32_e32 v23, v11
	v_cmp_gt_u64_e32 vcc, s[8:9], v[22:23]
	s_and_saveexec_b64 s[0:1], vcc
	s_xor_b64 s[14:15], exec, s[0:1]
	s_cbranch_execz .LBB18_900
; %bb.889:                              ;   in Loop: Header=BB18_807 Depth=1
	v_cmp_ne_u32_e32 vcc, 0, v3
	v_pk_mov_b32 v[20:21], 0, 0
	s_and_saveexec_b64 s[16:17], vcc
	s_cbranch_execz .LBB18_899
; %bb.890:                              ;   in Loop: Header=BB18_807 Depth=1
	v_bfe_u32 v3, v3, 23, 8
	v_sub_u32_e32 v15, 0x79, v3
	v_cmp_gt_u32_e32 vcc, s24, v3
	v_add_u32_e32 v13, 0xffffff81, v3
	v_cndmask_b32_e32 v15, 0, v15, vcc
	v_cmp_eq_u32_e32 vcc, 0, v3
	v_cndmask_b32_e32 v3, v13, v1, vcc
	v_cndmask_b32_e32 v13, v15, v28, vcc
	v_or_b32_e32 v17, 0x800000, v10
	v_add_u32_e32 v15, 20, v13
	v_cndmask_b32_e32 v10, v17, v10, vcc
	v_lshlrev_b64 v[20:21], v15, -1
	v_not_b32_e32 v15, v21
	v_not_b32_e32 v17, v20
	v_lshrrev_b64 v[24:25], v13, v[10:11]
	v_and_b32_e32 v21, 0, v15
	v_and_b32_e32 v20, v10, v17
	v_add_u32_e32 v15, 19, v13
	v_lshrrev_b32_e32 v10, 23, v24
	v_lshlrev_b64 v[22:23], v15, 1
	v_add3_u32 v13, v13, v3, v10
	v_bfe_u32 v3, v24, 20, 1
	v_add_u32_e32 v3, -1, v3
	v_cmp_eq_u64_e32 vcc, v[20:21], v[22:23]
	v_cndmask_b32_e32 v3, 0, v3, vcc
	v_add_u32_e32 v3, v3, v24
	v_and_b32_e32 v3, 0xfffff, v3
	v_add_co_u32_e32 v20, vcc, v3, v24
	v_add_u32_e32 v10, 6, v13
	v_addc_co_u32_e32 v21, vcc, 0, v25, vcc
	v_cmp_ne_u32_e32 vcc, 0, v10
                                        ; implicit-def: $vgpr3
	s_and_saveexec_b64 s[0:1], vcc
	s_xor_b64 s[0:1], exec, s[0:1]
; %bb.891:                              ;   in Loop: Header=BB18_807 Depth=1
	v_add_u32_e32 v3, 7, v13
	v_cmp_lt_u64_e32 vcc, s[10:11], v[20:21]
	v_cndmask_b32_e32 v3, v10, v3, vcc
	v_cndmask_b32_e64 v10, 0, 1, vcc
	v_lshrrev_b64 v[20:21], v10, v[20:21]
; %bb.892:                              ;   in Loop: Header=BB18_807 Depth=1
	s_andn2_saveexec_b64 s[0:1], s[0:1]
; %bb.893:                              ;   in Loop: Header=BB18_807 Depth=1
	v_bfe_u32 v3, v20, 23, 1
; %bb.894:                              ;   in Loop: Header=BB18_807 Depth=1
	s_or_b64 exec, exec, s[0:1]
	v_lshrrev_b64 v[20:21], 20, v[20:21]
	v_cmp_gt_i32_e32 vcc, 16, v3
	v_cndmask_b32_e32 v23, 0, v21, vcc
	v_cndmask_b32_e32 v22, 7, v20, vcc
	v_cmp_ne_u32_e32 vcc, 0, v3
	v_cmp_ne_u64_e64 s[0:1], 0, v[22:23]
	s_or_b64 s[0:1], vcc, s[0:1]
                                        ; implicit-def: $vgpr20_vgpr21
	s_and_saveexec_b64 s[28:29], s[0:1]
	s_xor_b64 s[0:1], exec, s[28:29]
; %bb.895:                              ;   in Loop: Header=BB18_807 Depth=1
	v_min_i32_e32 v3, 15, v3
	v_lshl_or_b32 v3, v3, 3, v4
	v_and_or_b32 v20, v22, 7, v3
                                        ; implicit-def: $vgpr4
; %bb.896:                              ;   in Loop: Header=BB18_807 Depth=1
	s_andn2_saveexec_b64 s[0:1], s[0:1]
; %bb.897:                              ;   in Loop: Header=BB18_807 Depth=1
	v_pk_mov_b32 v[20:21], v[4:5], v[4:5] op_sel:[0,1]
; %bb.898:                              ;   in Loop: Header=BB18_807 Depth=1
	s_or_b64 exec, exec, s[0:1]
.LBB18_899:                             ;   in Loop: Header=BB18_807 Depth=1
	s_or_b64 exec, exec, s[16:17]
.LBB18_900:                             ;   in Loop: Header=BB18_807 Depth=1
	s_andn2_saveexec_b64 s[0:1], s[14:15]
	s_or_b64 exec, exec, s[0:1]
                                        ; implicit-def: $vgpr3
.LBB18_901:                             ;   in Loop: Header=BB18_807 Depth=1
	s_andn2_saveexec_b64 s[0:1], s[12:13]
; %bb.902:                              ;   in Loop: Header=BB18_807 Depth=1
	v_or_b32_sdwa v3, v3, s25 dst_sel:DWORD dst_unused:UNUSED_PAD src0_sel:BYTE_3 src1_sel:DWORD
	v_cmp_eq_u64_e32 vcc, 0, v[10:11]
	v_cndmask_b32_e32 v20, v3, v20, vcc
; %bb.903:                              ;   in Loop: Header=BB18_807 Depth=1
	s_or_b64 exec, exec, s[0:1]
	v_cvt_f32_f16_e32 v3, v5
	v_mov_b32_e32 v25, v11
	v_div_scale_f32 v4, s[0:1], s95, s95, v3
	v_rcp_f32_e32 v10, v4
	v_div_scale_f32 v13, vcc, v3, s95, v3
	v_fma_f32 v15, -v4, v10, 1.0
	v_fmac_f32_e32 v10, v15, v10
	v_mul_f32_e32 v15, v13, v10
	v_fma_f32 v17, -v4, v15, v13
	v_fmac_f32_e32 v15, v17, v10
	v_fma_f32 v4, -v4, v15, v13
	v_div_fmas_f32 v4, v4, v10, v15
	v_div_fixup_f32 v3, v4, s95, v3
	v_cvt_f16_f32_e32 v3, v3
	v_cvt_f32_f16_e32 v3, v3
	v_and_b32_sdwa v4, v3, s23 dst_sel:DWORD dst_unused:UNUSED_PAD src0_sel:BYTE_3 src1_sel:DWORD
	v_and_b32_e32 v24, 0x7f800000, v3
	v_and_b32_e32 v10, 0x7fffff, v3
	v_or_b32_e32 v22, 0x7e, v4
	v_cmp_ne_u64_e32 vcc, s[6:7], v[24:25]
	s_and_saveexec_b64 s[0:1], vcc
	s_xor_b64 s[12:13], exec, s[0:1]
	s_cbranch_execz .LBB18_917
; %bb.904:                              ;   in Loop: Header=BB18_807 Depth=1
	v_and_b32_e32 v24, 0x7fffffff, v3
	v_mov_b32_e32 v25, v11
	v_cmp_gt_u64_e32 vcc, s[8:9], v[24:25]
	s_and_saveexec_b64 s[0:1], vcc
	s_xor_b64 s[14:15], exec, s[0:1]
	s_cbranch_execz .LBB18_916
; %bb.905:                              ;   in Loop: Header=BB18_807 Depth=1
	v_cmp_ne_u32_e32 vcc, 0, v3
	v_pk_mov_b32 v[22:23], 0, 0
	s_and_saveexec_b64 s[16:17], vcc
	s_cbranch_execz .LBB18_915
; %bb.906:                              ;   in Loop: Header=BB18_807 Depth=1
	v_bfe_u32 v3, v3, 23, 8
	v_sub_u32_e32 v15, 0x79, v3
	v_cmp_gt_u32_e32 vcc, s24, v3
	v_add_u32_e32 v13, 0xffffff81, v3
	v_cndmask_b32_e32 v15, 0, v15, vcc
	v_cmp_eq_u32_e32 vcc, 0, v3
	v_cndmask_b32_e32 v3, v13, v1, vcc
	v_cndmask_b32_e32 v13, v15, v28, vcc
	v_or_b32_e32 v17, 0x800000, v10
	v_add_u32_e32 v15, 20, v13
	v_cndmask_b32_e32 v10, v17, v10, vcc
	v_lshlrev_b64 v[22:23], v15, -1
	v_not_b32_e32 v15, v23
	v_not_b32_e32 v17, v22
	v_lshrrev_b64 v[26:27], v13, v[10:11]
	v_and_b32_e32 v23, 0, v15
	v_and_b32_e32 v22, v10, v17
	v_add_u32_e32 v15, 19, v13
	v_lshrrev_b32_e32 v10, 23, v26
	v_lshlrev_b64 v[24:25], v15, 1
	v_add3_u32 v13, v13, v3, v10
	v_bfe_u32 v3, v26, 20, 1
	v_add_u32_e32 v3, -1, v3
	v_cmp_eq_u64_e32 vcc, v[22:23], v[24:25]
	v_cndmask_b32_e32 v3, 0, v3, vcc
	v_add_u32_e32 v3, v3, v26
	v_and_b32_e32 v3, 0xfffff, v3
	v_add_co_u32_e32 v22, vcc, v3, v26
	v_add_u32_e32 v10, 6, v13
	v_addc_co_u32_e32 v23, vcc, 0, v27, vcc
	v_cmp_ne_u32_e32 vcc, 0, v10
                                        ; implicit-def: $vgpr3
	s_and_saveexec_b64 s[0:1], vcc
	s_xor_b64 s[0:1], exec, s[0:1]
; %bb.907:                              ;   in Loop: Header=BB18_807 Depth=1
	v_add_u32_e32 v3, 7, v13
	v_cmp_lt_u64_e32 vcc, s[10:11], v[22:23]
	v_cndmask_b32_e32 v3, v10, v3, vcc
	v_cndmask_b32_e64 v10, 0, 1, vcc
	v_lshrrev_b64 v[22:23], v10, v[22:23]
; %bb.908:                              ;   in Loop: Header=BB18_807 Depth=1
	s_andn2_saveexec_b64 s[0:1], s[0:1]
; %bb.909:                              ;   in Loop: Header=BB18_807 Depth=1
	v_bfe_u32 v3, v22, 23, 1
; %bb.910:                              ;   in Loop: Header=BB18_807 Depth=1
	s_or_b64 exec, exec, s[0:1]
	v_lshrrev_b64 v[22:23], 20, v[22:23]
	v_cmp_gt_i32_e32 vcc, 16, v3
	v_cndmask_b32_e32 v25, 0, v23, vcc
	v_cndmask_b32_e32 v24, 7, v22, vcc
	v_cmp_ne_u32_e32 vcc, 0, v3
	v_cmp_ne_u64_e64 s[0:1], 0, v[24:25]
	s_or_b64 s[0:1], vcc, s[0:1]
                                        ; implicit-def: $vgpr22_vgpr23
	s_and_saveexec_b64 s[28:29], s[0:1]
	s_xor_b64 s[0:1], exec, s[28:29]
; %bb.911:                              ;   in Loop: Header=BB18_807 Depth=1
	v_min_i32_e32 v3, 15, v3
	v_lshl_or_b32 v3, v3, 3, v4
	v_and_or_b32 v22, v24, 7, v3
                                        ; implicit-def: $vgpr4
; %bb.912:                              ;   in Loop: Header=BB18_807 Depth=1
	s_andn2_saveexec_b64 s[0:1], s[0:1]
; %bb.913:                              ;   in Loop: Header=BB18_807 Depth=1
	v_pk_mov_b32 v[22:23], v[4:5], v[4:5] op_sel:[0,1]
; %bb.914:                              ;   in Loop: Header=BB18_807 Depth=1
	s_or_b64 exec, exec, s[0:1]
.LBB18_915:                             ;   in Loop: Header=BB18_807 Depth=1
	s_or_b64 exec, exec, s[16:17]
.LBB18_916:                             ;   in Loop: Header=BB18_807 Depth=1
	s_andn2_saveexec_b64 s[0:1], s[14:15]
	s_or_b64 exec, exec, s[0:1]
                                        ; implicit-def: $vgpr3
.LBB18_917:                             ;   in Loop: Header=BB18_807 Depth=1
	s_andn2_saveexec_b64 s[0:1], s[12:13]
; %bb.918:                              ;   in Loop: Header=BB18_807 Depth=1
	v_or_b32_sdwa v3, v3, s25 dst_sel:DWORD dst_unused:UNUSED_PAD src0_sel:BYTE_3 src1_sel:DWORD
	v_cmp_eq_u64_e32 vcc, 0, v[10:11]
	v_cndmask_b32_e32 v22, v3, v22, vcc
; %bb.919:                              ;   in Loop: Header=BB18_807 Depth=1
	s_or_b64 exec, exec, s[0:1]
	v_cvt_f32_f16_sdwa v3, v5 dst_sel:DWORD dst_unused:UNUSED_PAD src0_sel:WORD_1
	v_mov_b32_e32 v27, v11
	v_div_scale_f32 v4, s[0:1], s95, s95, v3
	v_rcp_f32_e32 v5, v4
	v_div_scale_f32 v10, vcc, v3, s95, v3
	v_fma_f32 v13, -v4, v5, 1.0
	v_fmac_f32_e32 v5, v13, v5
	v_mul_f32_e32 v13, v10, v5
	v_fma_f32 v15, -v4, v13, v10
	v_fmac_f32_e32 v13, v15, v5
	v_fma_f32 v4, -v4, v13, v10
	v_div_fmas_f32 v4, v4, v5, v13
	v_div_fixup_f32 v3, v4, s95, v3
	v_cvt_f16_f32_e32 v3, v3
	v_cvt_f32_f16_e32 v3, v3
	v_and_b32_sdwa v4, v3, s23 dst_sel:DWORD dst_unused:UNUSED_PAD src0_sel:BYTE_3 src1_sel:DWORD
	v_and_b32_e32 v26, 0x7f800000, v3
	v_and_b32_e32 v10, 0x7fffff, v3
	v_or_b32_e32 v24, 0x7e, v4
	v_cmp_ne_u64_e32 vcc, s[6:7], v[26:27]
	s_and_saveexec_b64 s[0:1], vcc
	s_xor_b64 s[12:13], exec, s[0:1]
	s_cbranch_execz .LBB18_933
; %bb.920:                              ;   in Loop: Header=BB18_807 Depth=1
	v_and_b32_e32 v26, 0x7fffffff, v3
	v_mov_b32_e32 v27, v11
	v_cmp_gt_u64_e32 vcc, s[8:9], v[26:27]
	s_and_saveexec_b64 s[0:1], vcc
	s_xor_b64 s[14:15], exec, s[0:1]
	s_cbranch_execz .LBB18_932
; %bb.921:                              ;   in Loop: Header=BB18_807 Depth=1
	v_cmp_ne_u32_e32 vcc, 0, v3
	v_pk_mov_b32 v[24:25], 0, 0
	s_and_saveexec_b64 s[16:17], vcc
	s_cbranch_execz .LBB18_931
; %bb.922:                              ;   in Loop: Header=BB18_807 Depth=1
	v_bfe_u32 v3, v3, 23, 8
	v_sub_u32_e32 v13, 0x79, v3
	v_cmp_gt_u32_e32 vcc, s24, v3
	v_add_u32_e32 v5, 0xffffff81, v3
	v_cndmask_b32_e32 v13, 0, v13, vcc
	v_cmp_eq_u32_e32 vcc, 0, v3
	v_cndmask_b32_e32 v3, v5, v1, vcc
	v_cndmask_b32_e32 v5, v13, v28, vcc
	v_or_b32_e32 v15, 0x800000, v10
	v_add_u32_e32 v13, 20, v5
	v_cndmask_b32_e32 v10, v15, v10, vcc
	v_lshlrev_b64 v[24:25], v13, -1
	v_not_b32_e32 v13, v25
	v_not_b32_e32 v15, v24
	v_lshrrev_b64 v[30:31], v5, v[10:11]
	v_and_b32_e32 v25, 0, v13
	v_and_b32_e32 v24, v10, v15
	v_add_u32_e32 v13, 19, v5
	v_lshrrev_b32_e32 v10, 23, v30
	v_lshlrev_b64 v[26:27], v13, 1
	v_add3_u32 v10, v5, v3, v10
	v_bfe_u32 v3, v30, 20, 1
	v_add_u32_e32 v3, -1, v3
	v_cmp_eq_u64_e32 vcc, v[24:25], v[26:27]
	v_cndmask_b32_e32 v3, 0, v3, vcc
	v_add_u32_e32 v3, v3, v30
	v_and_b32_e32 v3, 0xfffff, v3
	v_add_co_u32_e32 v24, vcc, v3, v30
	v_add_u32_e32 v5, 6, v10
	v_addc_co_u32_e32 v25, vcc, 0, v31, vcc
	v_cmp_ne_u32_e32 vcc, 0, v5
                                        ; implicit-def: $vgpr3
	s_and_saveexec_b64 s[0:1], vcc
	s_xor_b64 s[0:1], exec, s[0:1]
; %bb.923:                              ;   in Loop: Header=BB18_807 Depth=1
	v_add_u32_e32 v3, 7, v10
	v_cmp_lt_u64_e32 vcc, s[10:11], v[24:25]
	v_cndmask_b32_e32 v3, v5, v3, vcc
	v_cndmask_b32_e64 v5, 0, 1, vcc
	v_lshrrev_b64 v[24:25], v5, v[24:25]
; %bb.924:                              ;   in Loop: Header=BB18_807 Depth=1
	s_andn2_saveexec_b64 s[0:1], s[0:1]
; %bb.925:                              ;   in Loop: Header=BB18_807 Depth=1
	v_bfe_u32 v3, v24, 23, 1
; %bb.926:                              ;   in Loop: Header=BB18_807 Depth=1
	s_or_b64 exec, exec, s[0:1]
	v_lshrrev_b64 v[24:25], 20, v[24:25]
	v_cmp_gt_i32_e32 vcc, 16, v3
	v_cndmask_b32_e32 v27, 0, v25, vcc
	v_cndmask_b32_e32 v26, 7, v24, vcc
	v_cmp_ne_u32_e32 vcc, 0, v3
	v_cmp_ne_u64_e64 s[0:1], 0, v[26:27]
	s_or_b64 s[0:1], vcc, s[0:1]
                                        ; implicit-def: $vgpr24_vgpr25
	s_and_saveexec_b64 s[28:29], s[0:1]
	s_xor_b64 s[0:1], exec, s[28:29]
; %bb.927:                              ;   in Loop: Header=BB18_807 Depth=1
	v_min_i32_e32 v3, 15, v3
	v_lshl_or_b32 v3, v3, 3, v4
	v_and_or_b32 v24, v26, 7, v3
                                        ; implicit-def: $vgpr4
; %bb.928:                              ;   in Loop: Header=BB18_807 Depth=1
	s_andn2_saveexec_b64 s[0:1], s[0:1]
; %bb.929:                              ;   in Loop: Header=BB18_807 Depth=1
	v_pk_mov_b32 v[24:25], v[4:5], v[4:5] op_sel:[0,1]
; %bb.930:                              ;   in Loop: Header=BB18_807 Depth=1
	s_or_b64 exec, exec, s[0:1]
.LBB18_931:                             ;   in Loop: Header=BB18_807 Depth=1
	s_or_b64 exec, exec, s[16:17]
.LBB18_932:                             ;   in Loop: Header=BB18_807 Depth=1
	s_andn2_saveexec_b64 s[0:1], s[14:15]
	s_or_b64 exec, exec, s[0:1]
                                        ; implicit-def: $vgpr3
.LBB18_933:                             ;   in Loop: Header=BB18_807 Depth=1
	s_andn2_saveexec_b64 s[0:1], s[12:13]
	s_cbranch_execz .LBB18_806
; %bb.934:                              ;   in Loop: Header=BB18_807 Depth=1
	v_or_b32_sdwa v3, v3, s25 dst_sel:DWORD dst_unused:UNUSED_PAD src0_sel:BYTE_3 src1_sel:DWORD
	v_cmp_eq_u64_e32 vcc, 0, v[10:11]
	v_cndmask_b32_e32 v24, v3, v24, vcc
	s_branch .LBB18_806
.LBB18_935:
	s_or_b64 exec, exec, s[2:3]
.LBB18_936:
	s_and_b32 s0, s91, 15
	s_mov_b32 s1, 0
	s_cmp_lg_u64 s[0:1], 0
	s_cselect_b64 s[2:3], -1, 0
	s_xor_b64 s[4:5], s[36:37], -1
	s_or_b64 s[2:3], s[4:5], s[2:3]
	s_mov_b64 s[0:1], -1
	s_and_b64 vcc, exec, s[2:3]
	s_cbranch_vccz .LBB18_1112
; %bb.937:
	s_sub_i32 s0, 0, s91
	s_bfe_u32 s0, s0, 0x30001
	s_min_i32 s40, s0, s42
	v_cmp_gt_i32_e32 vcc, s40, v0
	s_and_saveexec_b64 s[2:3], vcc
	s_cbranch_execz .LBB18_956
; %bb.938:
	s_add_u32 s0, s62, s88
	v_mov_b32_e32 v3, 0
	v_lshlrev_b32_e32 v2, 1, v0
	s_addc_u32 s1, s63, s89
	s_mov_b32 s18, 0
	v_mov_b32_e32 v1, v3
	v_mov_b32_e32 v5, s1
	v_add_co_u32_e32 v4, vcc, s0, v2
	v_addc_co_u32_e32 v5, vcc, 0, v5, vcc
	s_lshl_b32 s19, s86, 1
	s_mov_b32 s20, s18
	s_mov_b64 s[4:5], 0
	s_movk_i32 s21, 0x80
	s_mov_b64 s[6:7], 0x7f800000
	s_mov_b64 s[8:9], 0x43e00001
	s_movk_i32 s22, 0x7a
	s_mov_b64 s[10:11], 0xffffff
	s_movk_i32 s23, 0x7f
	v_mov_b32_e32 v10, 0xffffff82
	v_mov_b32_e32 v11, 0x78
	v_pk_mov_b32 v[6:7], v[0:1], v[0:1] op_sel:[0,1]
	s_branch .LBB18_940
.LBB18_939:                             ;   in Loop: Header=BB18_940 Depth=1
	s_or_b64 exec, exec, s[0:1]
	v_mov_b32_e32 v1, s94
	v_add_co_u32_e32 v12, vcc, s93, v6
	v_addc_co_u32_e32 v13, vcc, v1, v7, vcc
	v_mov_b32_e32 v1, s18
	v_add_co_u32_e32 v6, vcc, s86, v6
	v_addc_co_u32_e32 v7, vcc, v7, v1, vcc
	v_cmp_le_i32_e32 vcc, s40, v6
	v_mov_b32_e32 v1, s20
	s_or_b64 s[4:5], vcc, s[4:5]
	v_add_co_u32_e32 v4, vcc, s19, v4
	v_addc_co_u32_e32 v5, vcc, v5, v1, vcc
	global_store_byte v[12:13], v9, off
	s_andn2_b64 exec, exec, s[4:5]
	s_cbranch_execz .LBB18_956
.LBB18_940:                             ; =>This Inner Loop Header: Depth=1
	global_load_ushort v1, v[4:5], off
	s_waitcnt vmcnt(0)
	v_cvt_f32_f16_e32 v1, v1
	v_div_scale_f32 v2, s[0:1], s33, s33, v1
	v_rcp_f32_e32 v8, v2
	v_div_scale_f32 v9, vcc, v1, s33, v1
	v_fma_f32 v12, -v2, v8, 1.0
	v_fmac_f32_e32 v8, v12, v8
	v_mul_f32_e32 v12, v9, v8
	v_fma_f32 v13, -v2, v12, v9
	v_fmac_f32_e32 v12, v13, v8
	v_fma_f32 v2, -v2, v12, v9
	v_div_fmas_f32 v2, v2, v8, v12
	v_div_fixup_f32 v1, v2, s33, v1
	v_cvt_f16_f32_e32 v1, v1
	v_mov_b32_e32 v13, v3
	v_cvt_f32_f16_e32 v8, v1
	v_and_b32_sdwa v1, v8, s21 dst_sel:DWORD dst_unused:UNUSED_PAD src0_sel:BYTE_3 src1_sel:DWORD
	v_and_b32_e32 v12, 0x7f800000, v8
	v_and_b32_e32 v2, 0x7fffff, v8
	v_or_b32_e32 v9, 0x7e, v1
	v_cmp_ne_u64_e32 vcc, s[6:7], v[12:13]
	s_and_saveexec_b64 s[0:1], vcc
	s_xor_b64 s[12:13], exec, s[0:1]
	s_cbranch_execz .LBB18_954
; %bb.941:                              ;   in Loop: Header=BB18_940 Depth=1
	v_and_b32_e32 v12, 0x7fffffff, v8
	v_mov_b32_e32 v13, v3
	v_cmp_gt_u64_e32 vcc, s[8:9], v[12:13]
	s_and_saveexec_b64 s[0:1], vcc
	s_xor_b64 s[14:15], exec, s[0:1]
	s_cbranch_execz .LBB18_953
; %bb.942:                              ;   in Loop: Header=BB18_940 Depth=1
	v_cmp_ne_u32_e32 vcc, 0, v8
	v_mov_b32_e32 v9, 0
	s_and_saveexec_b64 s[16:17], vcc
	s_cbranch_execz .LBB18_952
; %bb.943:                              ;   in Loop: Header=BB18_940 Depth=1
	v_bfe_u32 v8, v8, 23, 8
	v_sub_u32_e32 v12, 0x79, v8
	v_cmp_gt_u32_e32 vcc, s22, v8
	v_cndmask_b32_e32 v12, 0, v12, vcc
	v_cmp_eq_u32_e32 vcc, 0, v8
	v_cndmask_b32_e32 v12, v12, v11, vcc
	v_add_u32_e32 v9, 0xffffff81, v8
	v_or_b32_e32 v13, 0x800000, v2
	v_add_u32_e32 v8, 20, v12
	v_cndmask_b32_e32 v18, v9, v10, vcc
	v_cndmask_b32_e32 v2, v13, v2, vcc
	v_lshlrev_b64 v[8:9], v8, -1
	v_not_b32_e32 v8, v8
	v_lshrrev_b64 v[16:17], v12, v[2:3]
	v_not_b32_e32 v9, v9
	v_and_b32_e32 v8, v2, v8
	v_add_u32_e32 v13, 19, v12
	v_lshrrev_b32_e32 v2, 23, v16
	v_and_b32_e32 v9, 0, v9
	v_lshlrev_b64 v[14:15], v13, 1
	v_add3_u32 v13, v12, v18, v2
	v_bfe_u32 v2, v16, 20, 1
	v_add_u32_e32 v2, -1, v2
	v_cmp_eq_u64_e32 vcc, v[8:9], v[14:15]
	v_cndmask_b32_e32 v2, 0, v2, vcc
	v_add_u32_e32 v2, v2, v16
	v_and_b32_e32 v2, 0xfffff, v2
	v_add_co_u32_e32 v8, vcc, v2, v16
	v_add_u32_e32 v12, 6, v13
	v_addc_co_u32_e32 v9, vcc, 0, v17, vcc
	v_cmp_ne_u32_e32 vcc, 0, v12
                                        ; implicit-def: $vgpr2
	s_and_saveexec_b64 s[0:1], vcc
	s_xor_b64 s[0:1], exec, s[0:1]
; %bb.944:                              ;   in Loop: Header=BB18_940 Depth=1
	v_add_u32_e32 v2, 7, v13
	v_cmp_lt_u64_e32 vcc, s[10:11], v[8:9]
	v_cndmask_b32_e32 v2, v12, v2, vcc
	v_cndmask_b32_e64 v12, 0, 1, vcc
	v_lshrrev_b64 v[8:9], v12, v[8:9]
; %bb.945:                              ;   in Loop: Header=BB18_940 Depth=1
	s_andn2_saveexec_b64 s[0:1], s[0:1]
; %bb.946:                              ;   in Loop: Header=BB18_940 Depth=1
	v_bfe_u32 v2, v8, 23, 1
; %bb.947:                              ;   in Loop: Header=BB18_940 Depth=1
	s_or_b64 exec, exec, s[0:1]
	v_lshrrev_b64 v[8:9], 20, v[8:9]
	v_cmp_gt_i32_e32 vcc, 16, v2
	v_cndmask_b32_e32 v9, 0, v9, vcc
	v_cndmask_b32_e32 v8, 7, v8, vcc
	v_cmp_ne_u32_e32 vcc, 0, v2
	v_cmp_ne_u64_e64 s[0:1], 0, v[8:9]
	s_or_b64 s[0:1], vcc, s[0:1]
                                        ; implicit-def: $vgpr9
	s_and_saveexec_b64 s[24:25], s[0:1]
	s_xor_b64 s[0:1], exec, s[24:25]
; %bb.948:                              ;   in Loop: Header=BB18_940 Depth=1
	v_min_i32_e32 v2, 15, v2
	v_lshl_or_b32 v1, v2, 3, v1
	v_and_or_b32 v9, v8, 7, v1
                                        ; implicit-def: $vgpr1
; %bb.949:                              ;   in Loop: Header=BB18_940 Depth=1
	s_andn2_saveexec_b64 s[0:1], s[0:1]
; %bb.950:                              ;   in Loop: Header=BB18_940 Depth=1
	v_mov_b32_e32 v9, v1
; %bb.951:                              ;   in Loop: Header=BB18_940 Depth=1
	s_or_b64 exec, exec, s[0:1]
.LBB18_952:                             ;   in Loop: Header=BB18_940 Depth=1
	s_or_b64 exec, exec, s[16:17]
.LBB18_953:                             ;   in Loop: Header=BB18_940 Depth=1
	s_andn2_saveexec_b64 s[0:1], s[14:15]
	s_or_b64 exec, exec, s[0:1]
                                        ; implicit-def: $vgpr8
.LBB18_954:                             ;   in Loop: Header=BB18_940 Depth=1
	s_andn2_saveexec_b64 s[0:1], s[12:13]
	s_cbranch_execz .LBB18_939
; %bb.955:                              ;   in Loop: Header=BB18_940 Depth=1
	v_or_b32_sdwa v1, v8, s23 dst_sel:DWORD dst_unused:UNUSED_PAD src0_sel:BYTE_3 src1_sel:DWORD
	v_cmp_eq_u64_e32 vcc, 0, v[2:3]
	v_cndmask_b32_e32 v9, v1, v9, vcc
	s_branch .LBB18_939
.LBB18_956:
	s_or_b64 exec, exec, s[2:3]
	s_sub_i32 s43, s42, s40
	s_ashr_i32 s0, s43, 31
	s_lshr_b32 s0, s0, 29
	s_add_i32 s0, s43, s0
	s_ashr_i32 s18, s0, 3
	s_ashr_i32 s41, s40, 31
	v_cmp_gt_i32_e32 vcc, s18, v0
	s_and_saveexec_b64 s[2:3], vcc
	s_cbranch_execz .LBB18_1087
; %bb.957:
	s_add_u32 s0, s40, s90
	s_addc_u32 s1, s41, s87
	s_add_u32 s0, s0, s59
	s_addc_u32 s1, s1, s58
	s_add_u32 s0, s66, s0
	v_lshlrev_b32_e32 v1, 3, v0
	s_addc_u32 s1, s67, s1
	v_mov_b32_e32 v2, s1
	v_add_co_u32_e32 v6, vcc, s0, v1
	s_lshl_b32 s20, s86, 3
	s_lshl_b64 s[0:1], s[40:41], 1
	s_add_u32 s0, s62, s0
	s_addc_u32 s1, s63, s1
	s_add_u32 s0, s0, s88
	v_addc_co_u32_e32 v7, vcc, 0, v2, vcc
	v_lshlrev_b32_e32 v1, 4, v0
	s_addc_u32 s1, s1, s89
	s_mov_b32 s19, 0
	v_mov_b32_e32 v2, s1
	v_add_co_u32_e32 v8, vcc, s0, v1
	v_addc_co_u32_e32 v9, vcc, 0, v2, vcc
	s_lshl_b32 s21, s86, 4
	s_mov_b32 s22, s19
	s_mov_b64 s[4:5], 0
	v_mov_b32_e32 v11, 0
	s_movk_i32 s23, 0x80
	s_mov_b64 s[6:7], 0x7f800000
	s_mov_b64 s[8:9], 0x43e00001
	s_movk_i32 s24, 0x7a
	s_mov_b64 s[10:11], 0xffffff
	s_movk_i32 s25, 0x7f
	s_mov_b32 s26, 0xff00
	s_mov_b32 s27, 0x4020c0c
	v_mov_b32_e32 v1, 0xffffff82
	v_mov_b32_e32 v28, 0x78
	v_mov_b32_e32 v29, v0
	s_branch .LBB18_959
.LBB18_958:                             ;   in Loop: Header=BB18_959 Depth=1
	s_or_b64 exec, exec, s[0:1]
	v_lshlrev_b32_e32 v4, 16, v22
	v_lshlrev_b32_e32 v3, 24, v24
	v_and_b32_e32 v4, 0xff0000, v4
	v_or_b32_e32 v3, v3, v4
	v_lshlrev_b32_e32 v4, 8, v20
	v_and_b32_e32 v4, 0xff00, v4
	v_and_b32_e32 v5, 0xff, v18
	v_or3_b32 v3, v3, v4, v5
	v_lshlrev_b32_e32 v4, 16, v16
	v_lshlrev_b32_e32 v5, 8, v14
	v_perm_b32 v2, v2, v4, s27
	v_and_or_b32 v2, v5, s26, v2
	v_or_b32_sdwa v2, v2, v12 dst_sel:DWORD dst_unused:UNUSED_PAD src0_sel:DWORD src1_sel:BYTE_0
	global_store_dwordx2 v[6:7], v[2:3], off
	v_mov_b32_e32 v2, s19
	v_add_co_u32_e32 v6, vcc, s20, v6
	v_add_u32_e32 v29, s86, v29
	v_addc_co_u32_e32 v7, vcc, v7, v2, vcc
	v_cmp_le_i32_e32 vcc, s18, v29
	v_mov_b32_e32 v2, s22
	s_or_b64 s[4:5], vcc, s[4:5]
	v_add_co_u32_e32 v8, vcc, s21, v8
	v_addc_co_u32_e32 v9, vcc, v9, v2, vcc
	s_andn2_b64 exec, exec, s[4:5]
	s_cbranch_execz .LBB18_1087
.LBB18_959:                             ; =>This Inner Loop Header: Depth=1
	global_load_dwordx4 v[2:5], v[8:9], off
	v_mov_b32_e32 v17, v11
	s_waitcnt vmcnt(0)
	v_cvt_f32_f16_e32 v10, v2
	v_div_scale_f32 v12, s[0:1], s33, s33, v10
	v_rcp_f32_e32 v13, v12
	v_div_scale_f32 v14, vcc, v10, s33, v10
	v_fma_f32 v15, -v12, v13, 1.0
	v_fmac_f32_e32 v13, v15, v13
	v_mul_f32_e32 v15, v14, v13
	v_fma_f32 v16, -v12, v15, v14
	v_fmac_f32_e32 v15, v16, v13
	v_fma_f32 v12, -v12, v15, v14
	v_div_fmas_f32 v12, v12, v13, v15
	v_div_fixup_f32 v10, v12, s33, v10
	v_cvt_f16_f32_e32 v10, v10
	v_cvt_f32_f16_e32 v15, v10
	v_and_b32_sdwa v14, v15, s23 dst_sel:DWORD dst_unused:UNUSED_PAD src0_sel:BYTE_3 src1_sel:DWORD
	v_and_b32_e32 v16, 0x7f800000, v15
	v_and_b32_e32 v10, 0x7fffff, v15
	v_or_b32_e32 v12, 0x7e, v14
	v_cmp_ne_u64_e32 vcc, s[6:7], v[16:17]
	s_and_saveexec_b64 s[0:1], vcc
	s_xor_b64 s[12:13], exec, s[0:1]
	s_cbranch_execz .LBB18_973
; %bb.960:                              ;   in Loop: Header=BB18_959 Depth=1
	v_and_b32_e32 v16, 0x7fffffff, v15
	v_mov_b32_e32 v17, v11
	v_cmp_gt_u64_e32 vcc, s[8:9], v[16:17]
	s_and_saveexec_b64 s[0:1], vcc
	s_xor_b64 s[14:15], exec, s[0:1]
	s_cbranch_execz .LBB18_972
; %bb.961:                              ;   in Loop: Header=BB18_959 Depth=1
	v_cmp_ne_u32_e32 vcc, 0, v15
	v_pk_mov_b32 v[12:13], 0, 0
	s_and_saveexec_b64 s[16:17], vcc
	s_cbranch_execz .LBB18_971
; %bb.962:                              ;   in Loop: Header=BB18_959 Depth=1
	v_bfe_u32 v12, v15, 23, 8
	v_sub_u32_e32 v15, 0x79, v12
	v_cmp_gt_u32_e32 vcc, s24, v12
	v_cndmask_b32_e32 v15, 0, v15, vcc
	v_cmp_eq_u32_e32 vcc, 0, v12
	v_cndmask_b32_e32 v15, v15, v28, vcc
	v_add_u32_e32 v13, 0xffffff81, v12
	v_or_b32_e32 v16, 0x800000, v10
	v_add_u32_e32 v12, 20, v15
	v_cndmask_b32_e32 v17, v13, v1, vcc
	v_cndmask_b32_e32 v10, v16, v10, vcc
	v_lshlrev_b64 v[12:13], v12, -1
	v_not_b32_e32 v12, v12
	v_lshrrev_b64 v[20:21], v15, v[10:11]
	v_not_b32_e32 v13, v13
	v_and_b32_e32 v12, v10, v12
	v_add_u32_e32 v16, 19, v15
	v_lshrrev_b32_e32 v10, 23, v20
	v_and_b32_e32 v13, 0, v13
	v_lshlrev_b64 v[18:19], v16, 1
	v_add3_u32 v16, v15, v17, v10
	v_bfe_u32 v10, v20, 20, 1
	v_add_u32_e32 v10, -1, v10
	v_cmp_eq_u64_e32 vcc, v[12:13], v[18:19]
	v_cndmask_b32_e32 v10, 0, v10, vcc
	v_add_u32_e32 v10, v10, v20
	v_and_b32_e32 v10, 0xfffff, v10
	v_add_co_u32_e32 v12, vcc, v10, v20
	v_add_u32_e32 v15, 6, v16
	v_addc_co_u32_e32 v13, vcc, 0, v21, vcc
	v_cmp_ne_u32_e32 vcc, 0, v15
                                        ; implicit-def: $vgpr10
	s_and_saveexec_b64 s[0:1], vcc
	s_xor_b64 s[0:1], exec, s[0:1]
; %bb.963:                              ;   in Loop: Header=BB18_959 Depth=1
	v_add_u32_e32 v10, 7, v16
	v_cmp_lt_u64_e32 vcc, s[10:11], v[12:13]
	v_cndmask_b32_e32 v10, v15, v10, vcc
	v_cndmask_b32_e64 v15, 0, 1, vcc
	v_lshrrev_b64 v[12:13], v15, v[12:13]
; %bb.964:                              ;   in Loop: Header=BB18_959 Depth=1
	s_andn2_saveexec_b64 s[0:1], s[0:1]
; %bb.965:                              ;   in Loop: Header=BB18_959 Depth=1
	v_bfe_u32 v10, v12, 23, 1
; %bb.966:                              ;   in Loop: Header=BB18_959 Depth=1
	s_or_b64 exec, exec, s[0:1]
	v_lshrrev_b64 v[12:13], 20, v[12:13]
	v_cmp_gt_i32_e32 vcc, 16, v10
	v_cndmask_b32_e32 v17, 0, v13, vcc
	v_cndmask_b32_e32 v16, 7, v12, vcc
	v_cmp_ne_u32_e32 vcc, 0, v10
	v_cmp_ne_u64_e64 s[0:1], 0, v[16:17]
	s_or_b64 s[0:1], vcc, s[0:1]
                                        ; implicit-def: $vgpr12_vgpr13
	s_and_saveexec_b64 s[28:29], s[0:1]
	s_xor_b64 s[0:1], exec, s[28:29]
; %bb.967:                              ;   in Loop: Header=BB18_959 Depth=1
	v_min_i32_e32 v10, 15, v10
	v_lshl_or_b32 v10, v10, 3, v14
	v_and_or_b32 v12, v16, 7, v10
                                        ; implicit-def: $vgpr14
; %bb.968:                              ;   in Loop: Header=BB18_959 Depth=1
	s_andn2_saveexec_b64 s[0:1], s[0:1]
; %bb.969:                              ;   in Loop: Header=BB18_959 Depth=1
	v_pk_mov_b32 v[12:13], v[14:15], v[14:15] op_sel:[0,1]
; %bb.970:                              ;   in Loop: Header=BB18_959 Depth=1
	s_or_b64 exec, exec, s[0:1]
.LBB18_971:                             ;   in Loop: Header=BB18_959 Depth=1
	s_or_b64 exec, exec, s[16:17]
.LBB18_972:                             ;   in Loop: Header=BB18_959 Depth=1
	s_andn2_saveexec_b64 s[0:1], s[14:15]
	s_or_b64 exec, exec, s[0:1]
                                        ; implicit-def: $vgpr15
.LBB18_973:                             ;   in Loop: Header=BB18_959 Depth=1
	s_andn2_saveexec_b64 s[0:1], s[12:13]
; %bb.974:                              ;   in Loop: Header=BB18_959 Depth=1
	v_or_b32_sdwa v13, v15, s25 dst_sel:DWORD dst_unused:UNUSED_PAD src0_sel:BYTE_3 src1_sel:DWORD
	v_cmp_eq_u64_e32 vcc, 0, v[10:11]
	v_cndmask_b32_e32 v12, v13, v12, vcc
; %bb.975:                              ;   in Loop: Header=BB18_959 Depth=1
	s_or_b64 exec, exec, s[0:1]
	v_cvt_f32_f16_sdwa v2, v2 dst_sel:DWORD dst_unused:UNUSED_PAD src0_sel:WORD_1
	v_mov_b32_e32 v17, v11
	v_div_scale_f32 v10, s[0:1], s33, s33, v2
	v_rcp_f32_e32 v13, v10
	v_div_scale_f32 v14, vcc, v2, s33, v2
	v_fma_f32 v15, -v10, v13, 1.0
	v_fmac_f32_e32 v13, v15, v13
	v_mul_f32_e32 v15, v14, v13
	v_fma_f32 v16, -v10, v15, v14
	v_fmac_f32_e32 v15, v16, v13
	v_fma_f32 v10, -v10, v15, v14
	v_div_fmas_f32 v10, v10, v13, v15
	v_div_fixup_f32 v2, v10, s33, v2
	v_cvt_f16_f32_e32 v2, v2
	v_cvt_f32_f16_e32 v13, v2
	v_and_b32_sdwa v2, v13, s23 dst_sel:DWORD dst_unused:UNUSED_PAD src0_sel:BYTE_3 src1_sel:DWORD
	v_and_b32_e32 v16, 0x7f800000, v13
	v_and_b32_e32 v10, 0x7fffff, v13
	v_or_b32_e32 v14, 0x7e, v2
	v_cmp_ne_u64_e32 vcc, s[6:7], v[16:17]
	s_and_saveexec_b64 s[0:1], vcc
	s_xor_b64 s[12:13], exec, s[0:1]
	s_cbranch_execz .LBB18_989
; %bb.976:                              ;   in Loop: Header=BB18_959 Depth=1
	v_and_b32_e32 v16, 0x7fffffff, v13
	v_mov_b32_e32 v17, v11
	v_cmp_gt_u64_e32 vcc, s[8:9], v[16:17]
	s_and_saveexec_b64 s[0:1], vcc
	s_xor_b64 s[14:15], exec, s[0:1]
	s_cbranch_execz .LBB18_988
; %bb.977:                              ;   in Loop: Header=BB18_959 Depth=1
	v_cmp_ne_u32_e32 vcc, 0, v13
	v_pk_mov_b32 v[14:15], 0, 0
	s_and_saveexec_b64 s[16:17], vcc
	s_cbranch_execz .LBB18_987
; %bb.978:                              ;   in Loop: Header=BB18_959 Depth=1
	v_bfe_u32 v13, v13, 23, 8
	v_sub_u32_e32 v15, 0x79, v13
	v_cmp_gt_u32_e32 vcc, s24, v13
	v_cndmask_b32_e32 v15, 0, v15, vcc
	v_cmp_eq_u32_e32 vcc, 0, v13
	v_add_u32_e32 v14, 0xffffff81, v13
	v_cndmask_b32_e32 v17, v15, v28, vcc
	v_or_b32_e32 v16, 0x800000, v10
	v_cndmask_b32_e32 v13, v14, v1, vcc
	v_add_u32_e32 v14, 20, v17
	v_cndmask_b32_e32 v10, v16, v10, vcc
	v_lshlrev_b64 v[14:15], v14, -1
	v_not_b32_e32 v14, v14
	v_lshrrev_b64 v[20:21], v17, v[10:11]
	v_not_b32_e32 v15, v15
	v_and_b32_e32 v14, v10, v14
	v_add_u32_e32 v16, 19, v17
	v_lshrrev_b32_e32 v10, 23, v20
	v_and_b32_e32 v15, 0, v15
	v_lshlrev_b64 v[18:19], v16, 1
	v_add3_u32 v16, v17, v13, v10
	v_bfe_u32 v10, v20, 20, 1
	v_add_u32_e32 v10, -1, v10
	v_cmp_eq_u64_e32 vcc, v[14:15], v[18:19]
	v_cndmask_b32_e32 v10, 0, v10, vcc
	v_add_u32_e32 v10, v10, v20
	v_and_b32_e32 v10, 0xfffff, v10
	v_add_co_u32_e32 v14, vcc, v10, v20
	v_add_u32_e32 v13, 6, v16
	v_addc_co_u32_e32 v15, vcc, 0, v21, vcc
	v_cmp_ne_u32_e32 vcc, 0, v13
                                        ; implicit-def: $vgpr10
	s_and_saveexec_b64 s[0:1], vcc
	s_xor_b64 s[0:1], exec, s[0:1]
; %bb.979:                              ;   in Loop: Header=BB18_959 Depth=1
	v_add_u32_e32 v10, 7, v16
	v_cmp_lt_u64_e32 vcc, s[10:11], v[14:15]
	v_cndmask_b32_e32 v10, v13, v10, vcc
	v_cndmask_b32_e64 v13, 0, 1, vcc
	v_lshrrev_b64 v[14:15], v13, v[14:15]
; %bb.980:                              ;   in Loop: Header=BB18_959 Depth=1
	s_andn2_saveexec_b64 s[0:1], s[0:1]
; %bb.981:                              ;   in Loop: Header=BB18_959 Depth=1
	v_bfe_u32 v10, v14, 23, 1
; %bb.982:                              ;   in Loop: Header=BB18_959 Depth=1
	s_or_b64 exec, exec, s[0:1]
	v_lshrrev_b64 v[14:15], 20, v[14:15]
	v_cmp_gt_i32_e32 vcc, 16, v10
	v_cndmask_b32_e32 v17, 0, v15, vcc
	v_cndmask_b32_e32 v16, 7, v14, vcc
	v_cmp_ne_u32_e32 vcc, 0, v10
	v_cmp_ne_u64_e64 s[0:1], 0, v[16:17]
	s_or_b64 s[0:1], vcc, s[0:1]
                                        ; implicit-def: $vgpr14_vgpr15
	s_and_saveexec_b64 s[28:29], s[0:1]
	s_xor_b64 s[0:1], exec, s[28:29]
; %bb.983:                              ;   in Loop: Header=BB18_959 Depth=1
	v_min_i32_e32 v10, 15, v10
	v_lshl_or_b32 v2, v10, 3, v2
	v_and_or_b32 v14, v16, 7, v2
                                        ; implicit-def: $vgpr2
; %bb.984:                              ;   in Loop: Header=BB18_959 Depth=1
	s_andn2_saveexec_b64 s[0:1], s[0:1]
; %bb.985:                              ;   in Loop: Header=BB18_959 Depth=1
	v_pk_mov_b32 v[14:15], v[2:3], v[2:3] op_sel:[0,1]
; %bb.986:                              ;   in Loop: Header=BB18_959 Depth=1
	s_or_b64 exec, exec, s[0:1]
.LBB18_987:                             ;   in Loop: Header=BB18_959 Depth=1
	s_or_b64 exec, exec, s[16:17]
.LBB18_988:                             ;   in Loop: Header=BB18_959 Depth=1
	s_andn2_saveexec_b64 s[0:1], s[14:15]
	s_or_b64 exec, exec, s[0:1]
                                        ; implicit-def: $vgpr13
.LBB18_989:                             ;   in Loop: Header=BB18_959 Depth=1
	s_andn2_saveexec_b64 s[0:1], s[12:13]
; %bb.990:                              ;   in Loop: Header=BB18_959 Depth=1
	v_or_b32_sdwa v2, v13, s25 dst_sel:DWORD dst_unused:UNUSED_PAD src0_sel:BYTE_3 src1_sel:DWORD
	v_cmp_eq_u64_e32 vcc, 0, v[10:11]
	v_cndmask_b32_e32 v14, v2, v14, vcc
; %bb.991:                              ;   in Loop: Header=BB18_959 Depth=1
	s_or_b64 exec, exec, s[0:1]
	v_cvt_f32_f16_e32 v2, v3
	v_mov_b32_e32 v19, v11
	v_div_scale_f32 v10, s[0:1], s33, s33, v2
	v_rcp_f32_e32 v13, v10
	v_div_scale_f32 v15, vcc, v2, s33, v2
	v_fma_f32 v16, -v10, v13, 1.0
	v_fmac_f32_e32 v13, v16, v13
	v_mul_f32_e32 v16, v15, v13
	v_fma_f32 v17, -v10, v16, v15
	v_fmac_f32_e32 v16, v17, v13
	v_fma_f32 v10, -v10, v16, v15
	v_div_fmas_f32 v10, v10, v13, v16
	v_div_fixup_f32 v2, v10, s33, v2
	v_cvt_f16_f32_e32 v2, v2
	v_cvt_f32_f16_e32 v13, v2
	v_and_b32_sdwa v2, v13, s23 dst_sel:DWORD dst_unused:UNUSED_PAD src0_sel:BYTE_3 src1_sel:DWORD
	v_and_b32_e32 v18, 0x7f800000, v13
	v_and_b32_e32 v10, 0x7fffff, v13
	v_or_b32_e32 v16, 0x7e, v2
	v_cmp_ne_u64_e32 vcc, s[6:7], v[18:19]
	s_and_saveexec_b64 s[0:1], vcc
	s_xor_b64 s[12:13], exec, s[0:1]
	s_cbranch_execz .LBB18_1005
; %bb.992:                              ;   in Loop: Header=BB18_959 Depth=1
	v_and_b32_e32 v18, 0x7fffffff, v13
	v_mov_b32_e32 v19, v11
	v_cmp_gt_u64_e32 vcc, s[8:9], v[18:19]
	s_and_saveexec_b64 s[0:1], vcc
	s_xor_b64 s[14:15], exec, s[0:1]
	s_cbranch_execz .LBB18_1004
; %bb.993:                              ;   in Loop: Header=BB18_959 Depth=1
	v_cmp_ne_u32_e32 vcc, 0, v13
	v_pk_mov_b32 v[16:17], 0, 0
	s_and_saveexec_b64 s[16:17], vcc
	s_cbranch_execz .LBB18_1003
; %bb.994:                              ;   in Loop: Header=BB18_959 Depth=1
	v_bfe_u32 v13, v13, 23, 8
	v_sub_u32_e32 v16, 0x79, v13
	v_cmp_gt_u32_e32 vcc, s24, v13
	v_add_u32_e32 v15, 0xffffff81, v13
	v_cndmask_b32_e32 v16, 0, v16, vcc
	v_cmp_eq_u32_e32 vcc, 0, v13
	v_cndmask_b32_e32 v13, v15, v1, vcc
	v_cndmask_b32_e32 v15, v16, v28, vcc
	v_or_b32_e32 v17, 0x800000, v10
	v_add_u32_e32 v16, 20, v15
	v_cndmask_b32_e32 v10, v17, v10, vcc
	v_lshlrev_b64 v[16:17], v16, -1
	v_not_b32_e32 v16, v16
	v_lshrrev_b64 v[20:21], v15, v[10:11]
	v_not_b32_e32 v17, v17
	v_and_b32_e32 v16, v10, v16
	v_add_u32_e32 v18, 19, v15
	v_lshrrev_b32_e32 v10, 23, v20
	v_and_b32_e32 v17, 0, v17
	v_lshlrev_b64 v[18:19], v18, 1
	v_add3_u32 v15, v15, v13, v10
	v_bfe_u32 v10, v20, 20, 1
	v_add_u32_e32 v10, -1, v10
	v_cmp_eq_u64_e32 vcc, v[16:17], v[18:19]
	v_cndmask_b32_e32 v10, 0, v10, vcc
	v_add_u32_e32 v10, v10, v20
	v_and_b32_e32 v10, 0xfffff, v10
	v_add_co_u32_e32 v16, vcc, v10, v20
	v_add_u32_e32 v13, 6, v15
	v_addc_co_u32_e32 v17, vcc, 0, v21, vcc
	v_cmp_ne_u32_e32 vcc, 0, v13
                                        ; implicit-def: $vgpr10
	s_and_saveexec_b64 s[0:1], vcc
	s_xor_b64 s[0:1], exec, s[0:1]
; %bb.995:                              ;   in Loop: Header=BB18_959 Depth=1
	v_add_u32_e32 v10, 7, v15
	v_cmp_lt_u64_e32 vcc, s[10:11], v[16:17]
	v_cndmask_b32_e32 v10, v13, v10, vcc
	v_cndmask_b32_e64 v13, 0, 1, vcc
	v_lshrrev_b64 v[16:17], v13, v[16:17]
; %bb.996:                              ;   in Loop: Header=BB18_959 Depth=1
	s_andn2_saveexec_b64 s[0:1], s[0:1]
; %bb.997:                              ;   in Loop: Header=BB18_959 Depth=1
	v_bfe_u32 v10, v16, 23, 1
; %bb.998:                              ;   in Loop: Header=BB18_959 Depth=1
	s_or_b64 exec, exec, s[0:1]
	v_lshrrev_b64 v[16:17], 20, v[16:17]
	v_cmp_gt_i32_e32 vcc, 16, v10
	v_cndmask_b32_e32 v19, 0, v17, vcc
	v_cndmask_b32_e32 v18, 7, v16, vcc
	v_cmp_ne_u32_e32 vcc, 0, v10
	v_cmp_ne_u64_e64 s[0:1], 0, v[18:19]
	s_or_b64 s[0:1], vcc, s[0:1]
                                        ; implicit-def: $vgpr16_vgpr17
	s_and_saveexec_b64 s[28:29], s[0:1]
	s_xor_b64 s[0:1], exec, s[28:29]
; %bb.999:                              ;   in Loop: Header=BB18_959 Depth=1
	v_min_i32_e32 v10, 15, v10
	v_lshl_or_b32 v2, v10, 3, v2
	v_and_or_b32 v16, v18, 7, v2
                                        ; implicit-def: $vgpr2
; %bb.1000:                             ;   in Loop: Header=BB18_959 Depth=1
	s_andn2_saveexec_b64 s[0:1], s[0:1]
; %bb.1001:                             ;   in Loop: Header=BB18_959 Depth=1
	v_pk_mov_b32 v[16:17], v[2:3], v[2:3] op_sel:[0,1]
; %bb.1002:                             ;   in Loop: Header=BB18_959 Depth=1
	s_or_b64 exec, exec, s[0:1]
.LBB18_1003:                            ;   in Loop: Header=BB18_959 Depth=1
	s_or_b64 exec, exec, s[16:17]
.LBB18_1004:                            ;   in Loop: Header=BB18_959 Depth=1
	s_andn2_saveexec_b64 s[0:1], s[14:15]
	s_or_b64 exec, exec, s[0:1]
                                        ; implicit-def: $vgpr13
.LBB18_1005:                            ;   in Loop: Header=BB18_959 Depth=1
	s_andn2_saveexec_b64 s[0:1], s[12:13]
; %bb.1006:                             ;   in Loop: Header=BB18_959 Depth=1
	v_or_b32_sdwa v2, v13, s25 dst_sel:DWORD dst_unused:UNUSED_PAD src0_sel:BYTE_3 src1_sel:DWORD
	v_cmp_eq_u64_e32 vcc, 0, v[10:11]
	v_cndmask_b32_e32 v16, v2, v16, vcc
; %bb.1007:                             ;   in Loop: Header=BB18_959 Depth=1
	s_or_b64 exec, exec, s[0:1]
	v_cvt_f32_f16_sdwa v2, v3 dst_sel:DWORD dst_unused:UNUSED_PAD src0_sel:WORD_1
	v_mov_b32_e32 v21, v11
	v_div_scale_f32 v3, s[0:1], s33, s33, v2
	v_rcp_f32_e32 v10, v3
	v_div_scale_f32 v13, vcc, v2, s33, v2
	v_fma_f32 v15, -v3, v10, 1.0
	v_fmac_f32_e32 v10, v15, v10
	v_mul_f32_e32 v15, v13, v10
	v_fma_f32 v17, -v3, v15, v13
	v_fmac_f32_e32 v15, v17, v10
	v_fma_f32 v3, -v3, v15, v13
	v_div_fmas_f32 v3, v3, v10, v15
	v_div_fixup_f32 v2, v3, s33, v2
	v_cvt_f16_f32_e32 v2, v2
	v_cvt_f32_f16_e32 v13, v2
	v_and_b32_sdwa v18, v13, s23 dst_sel:DWORD dst_unused:UNUSED_PAD src0_sel:BYTE_3 src1_sel:DWORD
	v_and_b32_e32 v20, 0x7f800000, v13
	v_and_b32_e32 v10, 0x7fffff, v13
	v_or_b32_e32 v2, 0x7e, v18
	v_cmp_ne_u64_e32 vcc, s[6:7], v[20:21]
	s_and_saveexec_b64 s[0:1], vcc
	s_xor_b64 s[12:13], exec, s[0:1]
	s_cbranch_execz .LBB18_1021
; %bb.1008:                             ;   in Loop: Header=BB18_959 Depth=1
	v_and_b32_e32 v20, 0x7fffffff, v13
	v_mov_b32_e32 v21, v11
	v_cmp_gt_u64_e32 vcc, s[8:9], v[20:21]
	s_and_saveexec_b64 s[0:1], vcc
	s_xor_b64 s[14:15], exec, s[0:1]
	s_cbranch_execz .LBB18_1020
; %bb.1009:                             ;   in Loop: Header=BB18_959 Depth=1
	v_cmp_ne_u32_e32 vcc, 0, v13
	v_pk_mov_b32 v[2:3], 0, 0
	s_and_saveexec_b64 s[16:17], vcc
	s_cbranch_execz .LBB18_1019
; %bb.1010:                             ;   in Loop: Header=BB18_959 Depth=1
	v_bfe_u32 v2, v13, 23, 8
	v_sub_u32_e32 v13, 0x79, v2
	v_cmp_gt_u32_e32 vcc, s24, v2
	v_cndmask_b32_e32 v13, 0, v13, vcc
	v_cmp_eq_u32_e32 vcc, 0, v2
	v_cndmask_b32_e32 v13, v13, v28, vcc
	v_add_u32_e32 v3, 0xffffff81, v2
	v_or_b32_e32 v15, 0x800000, v10
	v_add_u32_e32 v2, 20, v13
	v_cndmask_b32_e32 v17, v3, v1, vcc
	v_cndmask_b32_e32 v10, v15, v10, vcc
	v_lshlrev_b64 v[2:3], v2, -1
	v_not_b32_e32 v2, v2
	v_lshrrev_b64 v[22:23], v13, v[10:11]
	v_not_b32_e32 v3, v3
	v_and_b32_e32 v2, v10, v2
	v_add_u32_e32 v15, 19, v13
	v_lshrrev_b32_e32 v10, 23, v22
	v_and_b32_e32 v3, 0, v3
	v_lshlrev_b64 v[20:21], v15, 1
	v_add3_u32 v15, v13, v17, v10
	v_bfe_u32 v10, v22, 20, 1
	v_add_u32_e32 v10, -1, v10
	v_cmp_eq_u64_e32 vcc, v[2:3], v[20:21]
	v_cndmask_b32_e32 v2, 0, v10, vcc
	v_add_u32_e32 v2, v2, v22
	v_and_b32_e32 v2, 0xfffff, v2
	v_add_co_u32_e32 v2, vcc, v2, v22
	v_add_u32_e32 v13, 6, v15
	v_addc_co_u32_e32 v3, vcc, 0, v23, vcc
	v_cmp_ne_u32_e32 vcc, 0, v13
                                        ; implicit-def: $vgpr10
	s_and_saveexec_b64 s[0:1], vcc
	s_xor_b64 s[0:1], exec, s[0:1]
; %bb.1011:                             ;   in Loop: Header=BB18_959 Depth=1
	v_add_u32_e32 v10, 7, v15
	v_cmp_lt_u64_e32 vcc, s[10:11], v[2:3]
	v_cndmask_b32_e32 v10, v13, v10, vcc
	v_cndmask_b32_e64 v13, 0, 1, vcc
	v_lshrrev_b64 v[2:3], v13, v[2:3]
; %bb.1012:                             ;   in Loop: Header=BB18_959 Depth=1
	s_andn2_saveexec_b64 s[0:1], s[0:1]
; %bb.1013:                             ;   in Loop: Header=BB18_959 Depth=1
	v_bfe_u32 v10, v2, 23, 1
; %bb.1014:                             ;   in Loop: Header=BB18_959 Depth=1
	s_or_b64 exec, exec, s[0:1]
	v_lshrrev_b64 v[2:3], 20, v[2:3]
	v_cmp_gt_i32_e32 vcc, 16, v10
	v_cndmask_b32_e32 v21, 0, v3, vcc
	v_cndmask_b32_e32 v20, 7, v2, vcc
	v_cmp_ne_u32_e32 vcc, 0, v10
	v_cmp_ne_u64_e64 s[0:1], 0, v[20:21]
	s_or_b64 s[0:1], vcc, s[0:1]
                                        ; implicit-def: $vgpr2_vgpr3
	s_and_saveexec_b64 s[28:29], s[0:1]
	s_xor_b64 s[0:1], exec, s[28:29]
; %bb.1015:                             ;   in Loop: Header=BB18_959 Depth=1
	v_min_i32_e32 v2, 15, v10
	v_lshl_or_b32 v2, v2, 3, v18
	v_and_or_b32 v2, v20, 7, v2
                                        ; implicit-def: $vgpr18
; %bb.1016:                             ;   in Loop: Header=BB18_959 Depth=1
	s_andn2_saveexec_b64 s[0:1], s[0:1]
; %bb.1017:                             ;   in Loop: Header=BB18_959 Depth=1
	v_pk_mov_b32 v[2:3], v[18:19], v[18:19] op_sel:[0,1]
; %bb.1018:                             ;   in Loop: Header=BB18_959 Depth=1
	s_or_b64 exec, exec, s[0:1]
.LBB18_1019:                            ;   in Loop: Header=BB18_959 Depth=1
	s_or_b64 exec, exec, s[16:17]
.LBB18_1020:                            ;   in Loop: Header=BB18_959 Depth=1
	s_andn2_saveexec_b64 s[0:1], s[14:15]
	s_or_b64 exec, exec, s[0:1]
                                        ; implicit-def: $vgpr13
.LBB18_1021:                            ;   in Loop: Header=BB18_959 Depth=1
	s_andn2_saveexec_b64 s[0:1], s[12:13]
; %bb.1022:                             ;   in Loop: Header=BB18_959 Depth=1
	v_or_b32_sdwa v3, v13, s25 dst_sel:DWORD dst_unused:UNUSED_PAD src0_sel:BYTE_3 src1_sel:DWORD
	v_cmp_eq_u64_e32 vcc, 0, v[10:11]
	v_cndmask_b32_e32 v2, v3, v2, vcc
; %bb.1023:                             ;   in Loop: Header=BB18_959 Depth=1
	s_or_b64 exec, exec, s[0:1]
	v_cvt_f32_f16_e32 v3, v4
	v_mov_b32_e32 v23, v11
	v_div_scale_f32 v10, s[0:1], s33, s33, v3
	v_rcp_f32_e32 v13, v10
	v_div_scale_f32 v15, vcc, v3, s33, v3
	v_fma_f32 v17, -v10, v13, 1.0
	v_fmac_f32_e32 v13, v17, v13
	v_mul_f32_e32 v17, v15, v13
	v_fma_f32 v18, -v10, v17, v15
	v_fmac_f32_e32 v17, v18, v13
	v_fma_f32 v10, -v10, v17, v15
	v_div_fmas_f32 v10, v10, v13, v17
	v_div_fixup_f32 v3, v10, s33, v3
	v_cvt_f16_f32_e32 v3, v3
	v_cvt_f32_f16_e32 v3, v3
	v_and_b32_sdwa v20, v3, s23 dst_sel:DWORD dst_unused:UNUSED_PAD src0_sel:BYTE_3 src1_sel:DWORD
	v_and_b32_e32 v22, 0x7f800000, v3
	v_and_b32_e32 v10, 0x7fffff, v3
	v_or_b32_e32 v18, 0x7e, v20
	v_cmp_ne_u64_e32 vcc, s[6:7], v[22:23]
	s_and_saveexec_b64 s[0:1], vcc
	s_xor_b64 s[12:13], exec, s[0:1]
	s_cbranch_execz .LBB18_1037
; %bb.1024:                             ;   in Loop: Header=BB18_959 Depth=1
	v_and_b32_e32 v22, 0x7fffffff, v3
	v_mov_b32_e32 v23, v11
	v_cmp_gt_u64_e32 vcc, s[8:9], v[22:23]
	s_and_saveexec_b64 s[0:1], vcc
	s_xor_b64 s[14:15], exec, s[0:1]
	s_cbranch_execz .LBB18_1036
; %bb.1025:                             ;   in Loop: Header=BB18_959 Depth=1
	v_cmp_ne_u32_e32 vcc, 0, v3
	v_pk_mov_b32 v[18:19], 0, 0
	s_and_saveexec_b64 s[16:17], vcc
	s_cbranch_execz .LBB18_1035
; %bb.1026:                             ;   in Loop: Header=BB18_959 Depth=1
	v_bfe_u32 v3, v3, 23, 8
	v_sub_u32_e32 v15, 0x79, v3
	v_cmp_gt_u32_e32 vcc, s24, v3
	v_add_u32_e32 v13, 0xffffff81, v3
	v_cndmask_b32_e32 v15, 0, v15, vcc
	v_cmp_eq_u32_e32 vcc, 0, v3
	v_cndmask_b32_e32 v3, v13, v1, vcc
	v_cndmask_b32_e32 v13, v15, v28, vcc
	v_or_b32_e32 v17, 0x800000, v10
	v_add_u32_e32 v15, 20, v13
	v_cndmask_b32_e32 v10, v17, v10, vcc
	v_lshlrev_b64 v[18:19], v15, -1
	v_not_b32_e32 v15, v19
	v_not_b32_e32 v17, v18
	v_lshrrev_b64 v[24:25], v13, v[10:11]
	v_and_b32_e32 v19, 0, v15
	v_and_b32_e32 v18, v10, v17
	v_add_u32_e32 v15, 19, v13
	v_lshrrev_b32_e32 v10, 23, v24
	v_lshlrev_b64 v[22:23], v15, 1
	v_add3_u32 v13, v13, v3, v10
	v_bfe_u32 v3, v24, 20, 1
	v_add_u32_e32 v3, -1, v3
	v_cmp_eq_u64_e32 vcc, v[18:19], v[22:23]
	v_cndmask_b32_e32 v3, 0, v3, vcc
	v_add_u32_e32 v3, v3, v24
	v_and_b32_e32 v3, 0xfffff, v3
	v_add_co_u32_e32 v18, vcc, v3, v24
	v_add_u32_e32 v10, 6, v13
	v_addc_co_u32_e32 v19, vcc, 0, v25, vcc
	v_cmp_ne_u32_e32 vcc, 0, v10
                                        ; implicit-def: $vgpr3
	s_and_saveexec_b64 s[0:1], vcc
	s_xor_b64 s[0:1], exec, s[0:1]
; %bb.1027:                             ;   in Loop: Header=BB18_959 Depth=1
	v_add_u32_e32 v3, 7, v13
	v_cmp_lt_u64_e32 vcc, s[10:11], v[18:19]
	v_cndmask_b32_e32 v3, v10, v3, vcc
	v_cndmask_b32_e64 v10, 0, 1, vcc
	v_lshrrev_b64 v[18:19], v10, v[18:19]
; %bb.1028:                             ;   in Loop: Header=BB18_959 Depth=1
	s_andn2_saveexec_b64 s[0:1], s[0:1]
; %bb.1029:                             ;   in Loop: Header=BB18_959 Depth=1
	v_bfe_u32 v3, v18, 23, 1
; %bb.1030:                             ;   in Loop: Header=BB18_959 Depth=1
	s_or_b64 exec, exec, s[0:1]
	v_lshrrev_b64 v[18:19], 20, v[18:19]
	v_cmp_gt_i32_e32 vcc, 16, v3
	v_cndmask_b32_e32 v23, 0, v19, vcc
	v_cndmask_b32_e32 v22, 7, v18, vcc
	v_cmp_ne_u32_e32 vcc, 0, v3
	v_cmp_ne_u64_e64 s[0:1], 0, v[22:23]
	s_or_b64 s[0:1], vcc, s[0:1]
                                        ; implicit-def: $vgpr18_vgpr19
	s_and_saveexec_b64 s[28:29], s[0:1]
	s_xor_b64 s[0:1], exec, s[28:29]
; %bb.1031:                             ;   in Loop: Header=BB18_959 Depth=1
	v_min_i32_e32 v3, 15, v3
	v_lshl_or_b32 v3, v3, 3, v20
	v_and_or_b32 v18, v22, 7, v3
                                        ; implicit-def: $vgpr20
; %bb.1032:                             ;   in Loop: Header=BB18_959 Depth=1
	s_andn2_saveexec_b64 s[0:1], s[0:1]
; %bb.1033:                             ;   in Loop: Header=BB18_959 Depth=1
	v_pk_mov_b32 v[18:19], v[20:21], v[20:21] op_sel:[0,1]
; %bb.1034:                             ;   in Loop: Header=BB18_959 Depth=1
	s_or_b64 exec, exec, s[0:1]
.LBB18_1035:                            ;   in Loop: Header=BB18_959 Depth=1
	s_or_b64 exec, exec, s[16:17]
.LBB18_1036:                            ;   in Loop: Header=BB18_959 Depth=1
	s_andn2_saveexec_b64 s[0:1], s[14:15]
	s_or_b64 exec, exec, s[0:1]
                                        ; implicit-def: $vgpr3
.LBB18_1037:                            ;   in Loop: Header=BB18_959 Depth=1
	s_andn2_saveexec_b64 s[0:1], s[12:13]
; %bb.1038:                             ;   in Loop: Header=BB18_959 Depth=1
	v_or_b32_sdwa v3, v3, s25 dst_sel:DWORD dst_unused:UNUSED_PAD src0_sel:BYTE_3 src1_sel:DWORD
	v_cmp_eq_u64_e32 vcc, 0, v[10:11]
	v_cndmask_b32_e32 v18, v3, v18, vcc
; %bb.1039:                             ;   in Loop: Header=BB18_959 Depth=1
	s_or_b64 exec, exec, s[0:1]
	v_cvt_f32_f16_sdwa v3, v4 dst_sel:DWORD dst_unused:UNUSED_PAD src0_sel:WORD_1
	v_mov_b32_e32 v23, v11
	v_div_scale_f32 v4, s[0:1], s33, s33, v3
	v_rcp_f32_e32 v10, v4
	v_div_scale_f32 v13, vcc, v3, s33, v3
	v_fma_f32 v15, -v4, v10, 1.0
	v_fmac_f32_e32 v10, v15, v10
	v_mul_f32_e32 v15, v13, v10
	v_fma_f32 v17, -v4, v15, v13
	v_fmac_f32_e32 v15, v17, v10
	v_fma_f32 v4, -v4, v15, v13
	v_div_fmas_f32 v4, v4, v10, v15
	v_div_fixup_f32 v3, v4, s33, v3
	v_cvt_f16_f32_e32 v3, v3
	v_cvt_f32_f16_e32 v3, v3
	v_and_b32_sdwa v4, v3, s23 dst_sel:DWORD dst_unused:UNUSED_PAD src0_sel:BYTE_3 src1_sel:DWORD
	v_and_b32_e32 v22, 0x7f800000, v3
	v_and_b32_e32 v10, 0x7fffff, v3
	v_or_b32_e32 v20, 0x7e, v4
	v_cmp_ne_u64_e32 vcc, s[6:7], v[22:23]
	s_and_saveexec_b64 s[0:1], vcc
	s_xor_b64 s[12:13], exec, s[0:1]
	s_cbranch_execz .LBB18_1053
; %bb.1040:                             ;   in Loop: Header=BB18_959 Depth=1
	v_and_b32_e32 v22, 0x7fffffff, v3
	v_mov_b32_e32 v23, v11
	v_cmp_gt_u64_e32 vcc, s[8:9], v[22:23]
	s_and_saveexec_b64 s[0:1], vcc
	s_xor_b64 s[14:15], exec, s[0:1]
	s_cbranch_execz .LBB18_1052
; %bb.1041:                             ;   in Loop: Header=BB18_959 Depth=1
	v_cmp_ne_u32_e32 vcc, 0, v3
	v_pk_mov_b32 v[20:21], 0, 0
	s_and_saveexec_b64 s[16:17], vcc
	s_cbranch_execz .LBB18_1051
; %bb.1042:                             ;   in Loop: Header=BB18_959 Depth=1
	v_bfe_u32 v3, v3, 23, 8
	v_sub_u32_e32 v15, 0x79, v3
	v_cmp_gt_u32_e32 vcc, s24, v3
	v_add_u32_e32 v13, 0xffffff81, v3
	v_cndmask_b32_e32 v15, 0, v15, vcc
	v_cmp_eq_u32_e32 vcc, 0, v3
	v_cndmask_b32_e32 v3, v13, v1, vcc
	v_cndmask_b32_e32 v13, v15, v28, vcc
	v_or_b32_e32 v17, 0x800000, v10
	v_add_u32_e32 v15, 20, v13
	v_cndmask_b32_e32 v10, v17, v10, vcc
	v_lshlrev_b64 v[20:21], v15, -1
	v_not_b32_e32 v15, v21
	v_not_b32_e32 v17, v20
	v_lshrrev_b64 v[24:25], v13, v[10:11]
	v_and_b32_e32 v21, 0, v15
	v_and_b32_e32 v20, v10, v17
	v_add_u32_e32 v15, 19, v13
	v_lshrrev_b32_e32 v10, 23, v24
	v_lshlrev_b64 v[22:23], v15, 1
	v_add3_u32 v13, v13, v3, v10
	v_bfe_u32 v3, v24, 20, 1
	v_add_u32_e32 v3, -1, v3
	v_cmp_eq_u64_e32 vcc, v[20:21], v[22:23]
	v_cndmask_b32_e32 v3, 0, v3, vcc
	v_add_u32_e32 v3, v3, v24
	v_and_b32_e32 v3, 0xfffff, v3
	v_add_co_u32_e32 v20, vcc, v3, v24
	v_add_u32_e32 v10, 6, v13
	v_addc_co_u32_e32 v21, vcc, 0, v25, vcc
	v_cmp_ne_u32_e32 vcc, 0, v10
                                        ; implicit-def: $vgpr3
	s_and_saveexec_b64 s[0:1], vcc
	s_xor_b64 s[0:1], exec, s[0:1]
; %bb.1043:                             ;   in Loop: Header=BB18_959 Depth=1
	v_add_u32_e32 v3, 7, v13
	v_cmp_lt_u64_e32 vcc, s[10:11], v[20:21]
	v_cndmask_b32_e32 v3, v10, v3, vcc
	v_cndmask_b32_e64 v10, 0, 1, vcc
	v_lshrrev_b64 v[20:21], v10, v[20:21]
; %bb.1044:                             ;   in Loop: Header=BB18_959 Depth=1
	s_andn2_saveexec_b64 s[0:1], s[0:1]
; %bb.1045:                             ;   in Loop: Header=BB18_959 Depth=1
	v_bfe_u32 v3, v20, 23, 1
; %bb.1046:                             ;   in Loop: Header=BB18_959 Depth=1
	s_or_b64 exec, exec, s[0:1]
	v_lshrrev_b64 v[20:21], 20, v[20:21]
	v_cmp_gt_i32_e32 vcc, 16, v3
	v_cndmask_b32_e32 v23, 0, v21, vcc
	v_cndmask_b32_e32 v22, 7, v20, vcc
	v_cmp_ne_u32_e32 vcc, 0, v3
	v_cmp_ne_u64_e64 s[0:1], 0, v[22:23]
	s_or_b64 s[0:1], vcc, s[0:1]
                                        ; implicit-def: $vgpr20_vgpr21
	s_and_saveexec_b64 s[28:29], s[0:1]
	s_xor_b64 s[0:1], exec, s[28:29]
; %bb.1047:                             ;   in Loop: Header=BB18_959 Depth=1
	v_min_i32_e32 v3, 15, v3
	v_lshl_or_b32 v3, v3, 3, v4
	v_and_or_b32 v20, v22, 7, v3
                                        ; implicit-def: $vgpr4
; %bb.1048:                             ;   in Loop: Header=BB18_959 Depth=1
	s_andn2_saveexec_b64 s[0:1], s[0:1]
; %bb.1049:                             ;   in Loop: Header=BB18_959 Depth=1
	v_pk_mov_b32 v[20:21], v[4:5], v[4:5] op_sel:[0,1]
; %bb.1050:                             ;   in Loop: Header=BB18_959 Depth=1
	s_or_b64 exec, exec, s[0:1]
.LBB18_1051:                            ;   in Loop: Header=BB18_959 Depth=1
	s_or_b64 exec, exec, s[16:17]
.LBB18_1052:                            ;   in Loop: Header=BB18_959 Depth=1
	s_andn2_saveexec_b64 s[0:1], s[14:15]
	s_or_b64 exec, exec, s[0:1]
                                        ; implicit-def: $vgpr3
.LBB18_1053:                            ;   in Loop: Header=BB18_959 Depth=1
	s_andn2_saveexec_b64 s[0:1], s[12:13]
; %bb.1054:                             ;   in Loop: Header=BB18_959 Depth=1
	v_or_b32_sdwa v3, v3, s25 dst_sel:DWORD dst_unused:UNUSED_PAD src0_sel:BYTE_3 src1_sel:DWORD
	v_cmp_eq_u64_e32 vcc, 0, v[10:11]
	v_cndmask_b32_e32 v20, v3, v20, vcc
; %bb.1055:                             ;   in Loop: Header=BB18_959 Depth=1
	s_or_b64 exec, exec, s[0:1]
	v_cvt_f32_f16_e32 v3, v5
	v_mov_b32_e32 v25, v11
	v_div_scale_f32 v4, s[0:1], s33, s33, v3
	v_rcp_f32_e32 v10, v4
	v_div_scale_f32 v13, vcc, v3, s33, v3
	v_fma_f32 v15, -v4, v10, 1.0
	v_fmac_f32_e32 v10, v15, v10
	v_mul_f32_e32 v15, v13, v10
	v_fma_f32 v17, -v4, v15, v13
	v_fmac_f32_e32 v15, v17, v10
	v_fma_f32 v4, -v4, v15, v13
	v_div_fmas_f32 v4, v4, v10, v15
	v_div_fixup_f32 v3, v4, s33, v3
	v_cvt_f16_f32_e32 v3, v3
	v_cvt_f32_f16_e32 v3, v3
	v_and_b32_sdwa v4, v3, s23 dst_sel:DWORD dst_unused:UNUSED_PAD src0_sel:BYTE_3 src1_sel:DWORD
	v_and_b32_e32 v24, 0x7f800000, v3
	v_and_b32_e32 v10, 0x7fffff, v3
	v_or_b32_e32 v22, 0x7e, v4
	v_cmp_ne_u64_e32 vcc, s[6:7], v[24:25]
	s_and_saveexec_b64 s[0:1], vcc
	s_xor_b64 s[12:13], exec, s[0:1]
	s_cbranch_execz .LBB18_1069
; %bb.1056:                             ;   in Loop: Header=BB18_959 Depth=1
	v_and_b32_e32 v24, 0x7fffffff, v3
	v_mov_b32_e32 v25, v11
	v_cmp_gt_u64_e32 vcc, s[8:9], v[24:25]
	s_and_saveexec_b64 s[0:1], vcc
	s_xor_b64 s[14:15], exec, s[0:1]
	s_cbranch_execz .LBB18_1068
; %bb.1057:                             ;   in Loop: Header=BB18_959 Depth=1
	v_cmp_ne_u32_e32 vcc, 0, v3
	v_pk_mov_b32 v[22:23], 0, 0
	s_and_saveexec_b64 s[16:17], vcc
	s_cbranch_execz .LBB18_1067
; %bb.1058:                             ;   in Loop: Header=BB18_959 Depth=1
	v_bfe_u32 v3, v3, 23, 8
	v_sub_u32_e32 v15, 0x79, v3
	v_cmp_gt_u32_e32 vcc, s24, v3
	v_add_u32_e32 v13, 0xffffff81, v3
	v_cndmask_b32_e32 v15, 0, v15, vcc
	v_cmp_eq_u32_e32 vcc, 0, v3
	v_cndmask_b32_e32 v3, v13, v1, vcc
	v_cndmask_b32_e32 v13, v15, v28, vcc
	v_or_b32_e32 v17, 0x800000, v10
	v_add_u32_e32 v15, 20, v13
	v_cndmask_b32_e32 v10, v17, v10, vcc
	v_lshlrev_b64 v[22:23], v15, -1
	v_not_b32_e32 v15, v23
	v_not_b32_e32 v17, v22
	v_lshrrev_b64 v[26:27], v13, v[10:11]
	v_and_b32_e32 v23, 0, v15
	v_and_b32_e32 v22, v10, v17
	v_add_u32_e32 v15, 19, v13
	v_lshrrev_b32_e32 v10, 23, v26
	v_lshlrev_b64 v[24:25], v15, 1
	v_add3_u32 v13, v13, v3, v10
	v_bfe_u32 v3, v26, 20, 1
	v_add_u32_e32 v3, -1, v3
	v_cmp_eq_u64_e32 vcc, v[22:23], v[24:25]
	v_cndmask_b32_e32 v3, 0, v3, vcc
	v_add_u32_e32 v3, v3, v26
	v_and_b32_e32 v3, 0xfffff, v3
	v_add_co_u32_e32 v22, vcc, v3, v26
	v_add_u32_e32 v10, 6, v13
	v_addc_co_u32_e32 v23, vcc, 0, v27, vcc
	v_cmp_ne_u32_e32 vcc, 0, v10
                                        ; implicit-def: $vgpr3
	s_and_saveexec_b64 s[0:1], vcc
	s_xor_b64 s[0:1], exec, s[0:1]
; %bb.1059:                             ;   in Loop: Header=BB18_959 Depth=1
	v_add_u32_e32 v3, 7, v13
	v_cmp_lt_u64_e32 vcc, s[10:11], v[22:23]
	v_cndmask_b32_e32 v3, v10, v3, vcc
	v_cndmask_b32_e64 v10, 0, 1, vcc
	v_lshrrev_b64 v[22:23], v10, v[22:23]
; %bb.1060:                             ;   in Loop: Header=BB18_959 Depth=1
	s_andn2_saveexec_b64 s[0:1], s[0:1]
; %bb.1061:                             ;   in Loop: Header=BB18_959 Depth=1
	v_bfe_u32 v3, v22, 23, 1
; %bb.1062:                             ;   in Loop: Header=BB18_959 Depth=1
	s_or_b64 exec, exec, s[0:1]
	v_lshrrev_b64 v[22:23], 20, v[22:23]
	v_cmp_gt_i32_e32 vcc, 16, v3
	v_cndmask_b32_e32 v25, 0, v23, vcc
	v_cndmask_b32_e32 v24, 7, v22, vcc
	v_cmp_ne_u32_e32 vcc, 0, v3
	v_cmp_ne_u64_e64 s[0:1], 0, v[24:25]
	s_or_b64 s[0:1], vcc, s[0:1]
                                        ; implicit-def: $vgpr22_vgpr23
	s_and_saveexec_b64 s[28:29], s[0:1]
	s_xor_b64 s[0:1], exec, s[28:29]
; %bb.1063:                             ;   in Loop: Header=BB18_959 Depth=1
	v_min_i32_e32 v3, 15, v3
	v_lshl_or_b32 v3, v3, 3, v4
	v_and_or_b32 v22, v24, 7, v3
                                        ; implicit-def: $vgpr4
; %bb.1064:                             ;   in Loop: Header=BB18_959 Depth=1
	s_andn2_saveexec_b64 s[0:1], s[0:1]
; %bb.1065:                             ;   in Loop: Header=BB18_959 Depth=1
	v_pk_mov_b32 v[22:23], v[4:5], v[4:5] op_sel:[0,1]
; %bb.1066:                             ;   in Loop: Header=BB18_959 Depth=1
	s_or_b64 exec, exec, s[0:1]
.LBB18_1067:                            ;   in Loop: Header=BB18_959 Depth=1
	s_or_b64 exec, exec, s[16:17]
.LBB18_1068:                            ;   in Loop: Header=BB18_959 Depth=1
	s_andn2_saveexec_b64 s[0:1], s[14:15]
	s_or_b64 exec, exec, s[0:1]
                                        ; implicit-def: $vgpr3
.LBB18_1069:                            ;   in Loop: Header=BB18_959 Depth=1
	s_andn2_saveexec_b64 s[0:1], s[12:13]
; %bb.1070:                             ;   in Loop: Header=BB18_959 Depth=1
	v_or_b32_sdwa v3, v3, s25 dst_sel:DWORD dst_unused:UNUSED_PAD src0_sel:BYTE_3 src1_sel:DWORD
	v_cmp_eq_u64_e32 vcc, 0, v[10:11]
	v_cndmask_b32_e32 v22, v3, v22, vcc
; %bb.1071:                             ;   in Loop: Header=BB18_959 Depth=1
	s_or_b64 exec, exec, s[0:1]
	v_cvt_f32_f16_sdwa v3, v5 dst_sel:DWORD dst_unused:UNUSED_PAD src0_sel:WORD_1
	v_mov_b32_e32 v27, v11
	v_div_scale_f32 v4, s[0:1], s33, s33, v3
	v_rcp_f32_e32 v5, v4
	v_div_scale_f32 v10, vcc, v3, s33, v3
	v_fma_f32 v13, -v4, v5, 1.0
	v_fmac_f32_e32 v5, v13, v5
	v_mul_f32_e32 v13, v10, v5
	v_fma_f32 v15, -v4, v13, v10
	v_fmac_f32_e32 v13, v15, v5
	v_fma_f32 v4, -v4, v13, v10
	v_div_fmas_f32 v4, v4, v5, v13
	v_div_fixup_f32 v3, v4, s33, v3
	v_cvt_f16_f32_e32 v3, v3
	v_cvt_f32_f16_e32 v3, v3
	v_and_b32_sdwa v4, v3, s23 dst_sel:DWORD dst_unused:UNUSED_PAD src0_sel:BYTE_3 src1_sel:DWORD
	v_and_b32_e32 v26, 0x7f800000, v3
	v_and_b32_e32 v10, 0x7fffff, v3
	v_or_b32_e32 v24, 0x7e, v4
	v_cmp_ne_u64_e32 vcc, s[6:7], v[26:27]
	s_and_saveexec_b64 s[0:1], vcc
	s_xor_b64 s[12:13], exec, s[0:1]
	s_cbranch_execz .LBB18_1085
; %bb.1072:                             ;   in Loop: Header=BB18_959 Depth=1
	v_and_b32_e32 v26, 0x7fffffff, v3
	v_mov_b32_e32 v27, v11
	v_cmp_gt_u64_e32 vcc, s[8:9], v[26:27]
	s_and_saveexec_b64 s[0:1], vcc
	s_xor_b64 s[14:15], exec, s[0:1]
	s_cbranch_execz .LBB18_1084
; %bb.1073:                             ;   in Loop: Header=BB18_959 Depth=1
	v_cmp_ne_u32_e32 vcc, 0, v3
	v_pk_mov_b32 v[24:25], 0, 0
	s_and_saveexec_b64 s[16:17], vcc
	s_cbranch_execz .LBB18_1083
; %bb.1074:                             ;   in Loop: Header=BB18_959 Depth=1
	v_bfe_u32 v3, v3, 23, 8
	v_sub_u32_e32 v13, 0x79, v3
	v_cmp_gt_u32_e32 vcc, s24, v3
	v_add_u32_e32 v5, 0xffffff81, v3
	v_cndmask_b32_e32 v13, 0, v13, vcc
	v_cmp_eq_u32_e32 vcc, 0, v3
	v_cndmask_b32_e32 v3, v5, v1, vcc
	v_cndmask_b32_e32 v5, v13, v28, vcc
	v_or_b32_e32 v15, 0x800000, v10
	v_add_u32_e32 v13, 20, v5
	v_cndmask_b32_e32 v10, v15, v10, vcc
	v_lshlrev_b64 v[24:25], v13, -1
	v_not_b32_e32 v13, v25
	v_not_b32_e32 v15, v24
	v_lshrrev_b64 v[30:31], v5, v[10:11]
	v_and_b32_e32 v25, 0, v13
	v_and_b32_e32 v24, v10, v15
	v_add_u32_e32 v13, 19, v5
	v_lshrrev_b32_e32 v10, 23, v30
	v_lshlrev_b64 v[26:27], v13, 1
	v_add3_u32 v10, v5, v3, v10
	v_bfe_u32 v3, v30, 20, 1
	v_add_u32_e32 v3, -1, v3
	v_cmp_eq_u64_e32 vcc, v[24:25], v[26:27]
	v_cndmask_b32_e32 v3, 0, v3, vcc
	v_add_u32_e32 v3, v3, v30
	v_and_b32_e32 v3, 0xfffff, v3
	v_add_co_u32_e32 v24, vcc, v3, v30
	v_add_u32_e32 v5, 6, v10
	v_addc_co_u32_e32 v25, vcc, 0, v31, vcc
	v_cmp_ne_u32_e32 vcc, 0, v5
                                        ; implicit-def: $vgpr3
	s_and_saveexec_b64 s[0:1], vcc
	s_xor_b64 s[0:1], exec, s[0:1]
; %bb.1075:                             ;   in Loop: Header=BB18_959 Depth=1
	v_add_u32_e32 v3, 7, v10
	v_cmp_lt_u64_e32 vcc, s[10:11], v[24:25]
	v_cndmask_b32_e32 v3, v5, v3, vcc
	v_cndmask_b32_e64 v5, 0, 1, vcc
	v_lshrrev_b64 v[24:25], v5, v[24:25]
; %bb.1076:                             ;   in Loop: Header=BB18_959 Depth=1
	s_andn2_saveexec_b64 s[0:1], s[0:1]
; %bb.1077:                             ;   in Loop: Header=BB18_959 Depth=1
	v_bfe_u32 v3, v24, 23, 1
; %bb.1078:                             ;   in Loop: Header=BB18_959 Depth=1
	s_or_b64 exec, exec, s[0:1]
	v_lshrrev_b64 v[24:25], 20, v[24:25]
	v_cmp_gt_i32_e32 vcc, 16, v3
	v_cndmask_b32_e32 v27, 0, v25, vcc
	v_cndmask_b32_e32 v26, 7, v24, vcc
	v_cmp_ne_u32_e32 vcc, 0, v3
	v_cmp_ne_u64_e64 s[0:1], 0, v[26:27]
	s_or_b64 s[0:1], vcc, s[0:1]
                                        ; implicit-def: $vgpr24_vgpr25
	s_and_saveexec_b64 s[28:29], s[0:1]
	s_xor_b64 s[0:1], exec, s[28:29]
; %bb.1079:                             ;   in Loop: Header=BB18_959 Depth=1
	v_min_i32_e32 v3, 15, v3
	v_lshl_or_b32 v3, v3, 3, v4
	v_and_or_b32 v24, v26, 7, v3
                                        ; implicit-def: $vgpr4
; %bb.1080:                             ;   in Loop: Header=BB18_959 Depth=1
	s_andn2_saveexec_b64 s[0:1], s[0:1]
; %bb.1081:                             ;   in Loop: Header=BB18_959 Depth=1
	v_pk_mov_b32 v[24:25], v[4:5], v[4:5] op_sel:[0,1]
; %bb.1082:                             ;   in Loop: Header=BB18_959 Depth=1
	s_or_b64 exec, exec, s[0:1]
.LBB18_1083:                            ;   in Loop: Header=BB18_959 Depth=1
	s_or_b64 exec, exec, s[16:17]
.LBB18_1084:                            ;   in Loop: Header=BB18_959 Depth=1
	s_andn2_saveexec_b64 s[0:1], s[14:15]
	s_or_b64 exec, exec, s[0:1]
                                        ; implicit-def: $vgpr3
.LBB18_1085:                            ;   in Loop: Header=BB18_959 Depth=1
	s_andn2_saveexec_b64 s[0:1], s[12:13]
	s_cbranch_execz .LBB18_958
; %bb.1086:                             ;   in Loop: Header=BB18_959 Depth=1
	v_or_b32_sdwa v3, v3, s25 dst_sel:DWORD dst_unused:UNUSED_PAD src0_sel:BYTE_3 src1_sel:DWORD
	v_cmp_eq_u64_e32 vcc, 0, v[10:11]
	v_cndmask_b32_e32 v24, v3, v24, vcc
	s_branch .LBB18_958
.LBB18_1087:
	s_or_b64 exec, exec, s[2:3]
	v_lshl_add_u32 v2, s18, 3, v0
	v_cmp_gt_i32_e32 vcc, s43, v2
	s_and_saveexec_b64 s[44:45], vcc
	s_cbranch_execz .LBB18_1111
; %bb.1088:
	v_cvt_f32_u32_e32 v1, s86
	v_add_u32_e32 v3, s86, v2
	v_mov_b32_e32 v4, s86
	s_sub_i32 s2, 0, s86
	v_rcp_iflag_f32_e32 v1, v1
	v_cmp_gt_i32_e32 vcc, s43, v3
	v_max_i32_e32 v5, s43, v3
	v_addc_co_u32_e64 v3, s[0:1], v2, v4, vcc
	v_mul_f32_e32 v1, 0x4f7ffffe, v1
	v_cvt_u32_f32_e32 v1, v1
	v_sub_u32_e32 v3, v5, v3
	s_cmp_eq_u32 s86, 1
	v_mul_lo_u32 v4, s2, v1
	v_mul_hi_u32 v4, v1, v4
	v_add_u32_e32 v1, v1, v4
	v_mul_hi_u32 v1, v3, v1
	v_mul_lo_u32 v4, v1, s86
	v_sub_u32_e32 v3, v3, v4
	v_add_u32_e32 v5, 1, v1
	v_cmp_le_u32_e64 s[0:1], s86, v3
	v_subrev_u32_e32 v4, s86, v3
	v_cndmask_b32_e64 v1, v1, v5, s[0:1]
	v_cndmask_b32_e64 v3, v3, v4, s[0:1]
	v_add_u32_e32 v4, 1, v1
	v_cmp_le_u32_e64 s[0:1], s86, v3
	v_cndmask_b32_e64 v1, v1, v4, s[0:1]
	v_addc_co_u32_e32 v1, vcc, 1, v1, vcc
	v_cmp_lt_u32_e32 vcc, 3, v1
	s_cselect_b64 s[0:1], -1, 0
	s_and_b64 s[2:3], vcc, s[0:1]
	s_mov_b64 s[0:1], -1
	s_and_saveexec_b64 s[48:49], s[2:3]
	s_cbranch_execz .LBB18_1092
; %bb.1089:
	v_writelane_b32 v99, s60, 3
	v_writelane_b32 v99, s61, 4
	v_writelane_b32 v99, s62, 5
	s_lshl_b64 s[0:1], s[40:41], 1
	v_writelane_b32 v99, s63, 6
	s_add_u32 s46, s91, s0
	v_writelane_b32 v99, s64, 7
	s_addc_u32 s0, s92, s1
	v_writelane_b32 v99, s65, 8
	s_add_u32 s47, s93, s40
	v_writelane_b32 v99, s66, 9
	s_addc_u32 s1, s94, s41
	v_and_b32_e32 v3, -4, v1
	s_mov_b32 s83, s59
	s_mov_b32 s82, s58
	v_writelane_b32 v99, s67, 10
	s_mov_b32 s54, s33
	s_mov_b32 s55, s33
	;; [unrolled: 1-line block ×3, first 2 shown]
	s_mov_b64 s[50:51], 0
	v_mov_b32_e32 v16, s1
	v_mov_b32_e32 v17, s0
	s_movk_i32 s79, 0x80
	s_mov_b64 s[52:53], 0x7f800000
	s_mov_b64 s[56:57], 0x43e00000
	;; [unrolled: 1-line block ×3, first 2 shown]
	s_movk_i32 s80, 0x7a
	v_mov_b32_e32 v18, 0xffffff82
	v_mov_b32_e32 v19, 0x78
	s_mov_b64 s[60:61], 0xffffff
	s_movk_i32 s81, 0x7f
	v_mov_b32_e32 v5, 0
	v_mov_b32_e32 v6, v2
	v_mov_b32_e32 v20, v3
.LBB18_1090:                            ; =>This Inner Loop Header: Depth=1
	v_ashrrev_i32_e32 v7, 31, v6
	v_lshlrev_b64 v[8:9], 1, v[6:7]
	v_add_co_u32_e32 v8, vcc, s46, v8
	v_addc_co_u32_e32 v9, vcc, v17, v9, vcc
	global_load_dwordx2 v[22:23], v[8:9], off
	v_add_co_u32_e32 v8, vcc, s47, v6
	v_addc_co_u32_e32 v9, vcc, v16, v7, vcc
	v_mov_b32_e32 v33, v5
	v_mov_b32_e32 v37, v5
	;; [unrolled: 1-line block ×7, first 2 shown]
	v_add_u32_e32 v20, -4, v20
	v_add_u32_e32 v6, 4, v6
	s_waitcnt vmcnt(0)
	v_cvt_f32_f16_e32 v7, v22
	v_cvt_f32_f16_sdwa v12, v22 dst_sel:DWORD dst_unused:UNUSED_PAD src0_sel:WORD_1
	v_cvt_f32_f16_e32 v10, v23
	v_cvt_f32_f16_sdwa v4, v23 dst_sel:DWORD dst_unused:UNUSED_PAD src0_sel:WORD_1
	v_div_scale_f32 v14, s[0:1], s33, s33, v7
	v_div_scale_f32 v22, s[0:1], s54, s54, v12
	v_rcp_f32_e32 v28, v14
	v_div_scale_f32 v24, s[2:3], s55, s55, v10
	v_rcp_f32_e32 v29, v22
	;; [unrolled: 2-line block ×3, first 2 shown]
	v_rcp_f32_e32 v32, v26
	v_fma_f32 v34, -v14, v28, 1.0
	v_div_scale_f32 v21, vcc, v7, s33, v7
	v_fma_f32 v36, -v22, v29, 1.0
	v_fmac_f32_e32 v28, v34, v28
	v_div_scale_f32 v23, s[0:1], v12, s54, v12
	v_fma_f32 v38, -v24, v30, 1.0
	v_fmac_f32_e32 v29, v36, v29
	v_mul_f32_e32 v34, v21, v28
	v_div_scale_f32 v25, s[2:3], v10, s55, v10
	v_fma_f32 v39, -v26, v32, 1.0
	v_fmac_f32_e32 v30, v38, v30
	v_mul_f32_e32 v36, v23, v29
	v_fma_f32 v40, -v14, v34, v21
	v_div_scale_f32 v27, s[4:5], v4, s78, v4
	v_fmac_f32_e32 v32, v39, v32
	v_mul_f32_e32 v38, v25, v30
	v_fma_f32 v41, -v22, v36, v23
	v_fmac_f32_e32 v34, v40, v28
	v_mul_f32_e32 v39, v27, v32
	v_fma_f32 v42, -v24, v38, v25
	v_fmac_f32_e32 v36, v41, v29
	v_fma_f32 v14, -v14, v34, v21
	v_fma_f32 v43, -v26, v39, v27
	v_fmac_f32_e32 v38, v42, v30
	v_fma_f32 v21, -v22, v36, v23
	v_div_fmas_f32 v14, v14, v28, v34
	s_mov_b64 vcc, s[0:1]
	v_fmac_f32_e32 v39, v43, v32
	v_fma_f32 v22, -v24, v38, v25
	v_div_fixup_f32 v7, v14, s33, v7
	v_div_fmas_f32 v14, v21, v29, v36
	s_mov_b64 vcc, s[2:3]
	v_fma_f32 v23, -v26, v39, v27
	v_div_fixup_f32 v12, v14, s54, v12
	v_div_fmas_f32 v14, v22, v30, v38
	s_mov_b64 vcc, s[4:5]
	v_div_fixup_f32 v10, v14, s55, v10
	v_div_fmas_f32 v14, v23, v32, v39
	v_div_fixup_f32 v4, v14, s78, v4
	v_cvt_f16_f32_e32 v4, v4
	v_cvt_f16_f32_e32 v7, v7
	;; [unrolled: 1-line block ×4, first 2 shown]
	v_cvt_f32_f16_e32 v28, v4
	v_cvt_f32_f16_e32 v23, v7
	;; [unrolled: 1-line block ×4, first 2 shown]
	v_and_b32_e32 v32, 0x7f800000, v28
	v_cmp_ne_u64_e64 s[12:13], s[52:53], v[32:33]
	v_and_b32_e32 v32, 0x7fffffff, v28
	v_cmp_gt_u64_e64 s[8:9], s[58:59], v[32:33]
	v_and_b32_e32 v38, 0x7fffffff, v23
	v_bfe_u32 v45, v28, 23, 8
	v_mov_b32_e32 v39, v5
	s_and_b64 s[66:67], s[12:13], s[8:9]
	v_cmp_ne_u32_e64 s[22:23], 0, v28
	v_and_b32_e32 v36, 0x7f800000, v23
	v_bfe_u32 v44, v27, 23, 8
	v_cmp_lt_u64_e64 s[20:21], s[56:57], v[38:39]
	v_cmp_gt_u64_e64 s[2:3], s[58:59], v[38:39]
	s_and_b64 s[62:63], s[66:67], s[22:23]
	v_sub_u32_e32 v39, 0x79, v45
	v_cmp_gt_u32_e64 s[22:23], s80, v45
	v_bfe_u32 v43, v25, 23, 8
	v_cmp_ne_u64_e32 vcc, s[52:53], v[36:37]
	v_and_b32_e32 v36, 0x7fffffff, v25
	v_sub_u32_e32 v38, 0x79, v44
	v_cndmask_b32_e64 v39, 0, v39, s[22:23]
	v_cmp_gt_u32_e64 s[22:23], s80, v44
	v_bfe_u32 v42, v23, 23, 8
	v_and_b32_e32 v34, 0x7f800000, v27
	v_and_b32_e32 v40, 0x7fffffff, v27
	v_mov_b32_e32 v41, v5
	v_cmp_lt_u64_e64 s[18:19], s[56:57], v[36:37]
	v_cmp_gt_u64_e64 s[4:5], s[58:59], v[36:37]
	v_sub_u32_e32 v37, 0x79, v43
	v_cndmask_b32_e64 v38, 0, v38, s[22:23]
	v_cmp_gt_u32_e64 s[22:23], s80, v43
	v_and_b32_e32 v30, 0x7f800000, v25
	v_cmp_ne_u64_e64 s[10:11], s[52:53], v[34:35]
	v_cmp_gt_u64_e64 s[6:7], s[58:59], v[40:41]
	v_sub_u32_e32 v36, 0x79, v42
	v_cndmask_b32_e64 v37, 0, v37, s[22:23]
	v_cmp_gt_u32_e64 s[22:23], s80, v42
	v_and_b32_e32 v10, 0x7fffff, v27
	v_cmp_ne_u64_e64 s[0:1], s[52:53], v[30:31]
	s_and_b64 s[72:73], s[10:11], s[6:7]
	s_and_b64 s[76:77], vcc, s[2:3]
	v_cmp_ne_u32_e64 s[24:25], 0, v27
	v_cmp_ne_u32_e64 s[28:29], 0, v23
	v_cndmask_b32_e64 v36, 0, v36, s[22:23]
	v_cmp_eq_u32_e64 s[22:23], 0, v45
	v_and_b32_e32 v14, 0x7fffff, v23
	v_and_b32_e32 v4, 0x7fffff, v28
	s_and_b64 s[74:75], s[0:1], s[4:5]
	v_cmp_ne_u32_e64 s[26:27], 0, v25
	s_and_b64 s[70:71], s[76:77], s[28:29]
	s_and_b64 s[64:65], s[72:73], s[24:25]
	v_add_u32_e32 v34, 0xffffff81, v44
	v_or_b32_e32 v46, 0x800000, v10
	v_cmp_eq_u32_e64 s[24:25], 0, v44
	v_cmp_eq_u32_e64 s[28:29], 0, v42
	v_cndmask_b32_e64 v63, v39, v19, s[22:23]
	v_and_b32_e32 v12, 0x7fffff, v25
	v_cmp_lt_u64_e64 s[14:15], s[56:57], v[32:33]
	v_cmp_lt_u64_e64 s[16:17], s[56:57], v[40:41]
	s_and_b64 s[68:69], s[74:75], s[26:27]
	v_add_u32_e32 v32, 0xffffff81, v42
	v_or_b32_e32 v40, 0x800000, v14
	v_or_b32_e32 v47, 0x800000, v4
	v_cndmask_b32_e64 v57, v34, v18, s[24:25]
	v_cmp_eq_u32_e64 s[26:27], 0, v43
	v_cndmask_b32_e64 v60, v36, v19, s[28:29]
	v_cndmask_b32_e64 v62, v38, v19, s[24:25]
	;; [unrolled: 1-line block ×3, first 2 shown]
	v_add_u32_e32 v46, 20, v63
	v_add_u32_e32 v33, 0xffffff81, v43
	v_or_b32_e32 v41, 0x800000, v12
	v_cndmask_b32_e64 v59, v32, v18, s[28:29]
	v_cndmask_b32_e64 v61, v37, v19, s[26:27]
	;; [unrolled: 1-line block ×4, first 2 shown]
	v_add_u32_e32 v44, 20, v62
	v_add_u32_e32 v40, 20, v60
	v_lshlrev_b64 v[46:47], v46, -1
	v_add_u32_e32 v35, 0xffffff81, v45
	v_cndmask_b32_e64 v58, v33, v18, s[26:27]
	v_mov_b32_e32 v33, v5
	v_cndmask_b32_e64 v36, v41, v12, s[26:27]
	v_add_u32_e32 v42, 20, v61
	v_lshlrev_b64 v[40:41], v40, -1
	v_lshlrev_b64 v[44:45], v44, -1
	v_not_b32_e32 v46, v46
	v_cndmask_b32_e64 v56, v35, v18, s[22:23]
	v_mov_b32_e32 v35, v5
	v_mov_b32_e32 v39, v5
	v_lshlrev_b64 v[42:43], v42, -1
	v_not_b32_e32 v44, v44
	v_not_b32_e32 v40, v40
	v_and_b32_e32 v46, v32, v46
	v_lshrrev_b64 v[32:33], v63, v[32:33]
	v_mov_b32_e32 v37, v5
	v_not_b32_e32 v42, v42
	v_and_b32_e32 v40, v38, v40
	v_and_b32_e32 v44, v34, v44
	v_add_u32_e32 v48, 19, v60
	v_lshrrev_b64 v[34:35], v62, v[34:35]
	v_lshrrev_b64 v[38:39], v60, v[38:39]
	v_lshrrev_b32_e32 v64, 23, v32
	v_mov_b32_e32 v41, v5
	v_and_b32_e32 v42, v36, v42
	v_add_u32_e32 v50, 19, v61
	v_lshlrev_b64 v[48:49], v48, 1
	v_lshrrev_b64 v[36:37], v61, v[36:37]
	v_lshrrev_b32_e32 v65, 23, v34
	v_add3_u32 v56, v63, v56, v64
	v_bfe_u32 v64, v38, 20, 1
	v_mov_b32_e32 v43, v5
	v_add_u32_e32 v52, 19, v62
	v_lshlrev_b64 v[50:51], v50, 1
	v_lshrrev_b32_e32 v66, 23, v36
	v_add3_u32 v57, v62, v57, v65
	v_bfe_u32 v65, v36, 20, 1
	v_add_u32_e32 v64, -1, v64
	v_cmp_eq_u64_e64 s[22:23], v[40:41], v[48:49]
	v_mov_b32_e32 v45, v5
	v_add_u32_e32 v54, 19, v63
	v_lshlrev_b64 v[52:53], v52, 1
	v_lshrrev_b32_e32 v67, 23, v38
	v_add3_u32 v58, v61, v58, v66
	v_bfe_u32 v66, v34, 20, 1
	v_add_u32_e32 v65, -1, v65
	v_cndmask_b32_e64 v40, 0, v64, s[22:23]
	v_cmp_eq_u64_e64 s[22:23], v[42:43], v[50:51]
	v_mov_b32_e32 v47, v5
	v_lshlrev_b64 v[54:55], v54, 1
	v_add3_u32 v59, v60, v59, v67
	v_bfe_u32 v67, v32, 20, 1
	v_add_u32_e32 v66, -1, v66
	v_cndmask_b32_e64 v41, 0, v65, s[22:23]
	v_cmp_eq_u64_e64 s[22:23], v[44:45], v[52:53]
	v_add_u32_e32 v67, -1, v67
	v_cndmask_b32_e64 v42, 0, v66, s[22:23]
	v_cmp_eq_u64_e64 s[22:23], v[46:47], v[54:55]
	v_cndmask_b32_e64 v43, 0, v67, s[22:23]
	v_add_u32_e32 v43, v43, v32
	v_and_b32_e32 v43, 0xfffff, v43
	v_add_u32_e32 v42, v42, v34
	v_add_co_u32_e64 v32, s[22:23], v43, v32
	v_and_b32_e32 v42, 0xfffff, v42
	v_addc_co_u32_e64 v33, s[22:23], 0, v33, s[22:23]
	v_add_u32_e32 v41, v41, v36
	v_add_co_u32_e64 v34, s[22:23], v42, v34
	v_and_b32_e32 v41, 0xfffff, v41
	v_addc_co_u32_e64 v35, s[22:23], 0, v35, s[22:23]
	;; [unrolled: 4-line block ×3, first 2 shown]
	v_add_co_u32_e64 v38, s[22:23], v40, v38
	v_add_u32_e32 v63, 6, v59
	v_addc_co_u32_e64 v39, s[22:23], 0, v39, s[22:23]
	v_add_u32_e32 v60, 6, v56
	v_add_u32_e32 v62, 6, v58
	v_cmp_ne_u32_e64 s[22:23], 0, v63
	v_add_u32_e32 v40, 7, v59
	v_cmp_lt_u64_e64 s[38:39], s[60:61], v[38:39]
	v_add_u32_e32 v61, 6, v57
	v_cmp_ne_u32_e64 s[24:25], 0, v62
	v_cmp_ne_u32_e64 s[28:29], 0, v60
	v_add_u32_e32 v43, 7, v56
	v_cmp_lt_u64_e64 s[30:31], s[60:61], v[32:33]
	v_cndmask_b32_e64 v40, v63, v40, s[38:39]
	v_bfe_u32 v47, v38, 23, 1
	s_and_b64 s[22:23], s[70:71], s[22:23]
	v_cmp_ne_u32_e64 s[26:27], 0, v61
	v_add_u32_e32 v42, 7, v57
	v_cndmask_b32_e64 v43, v60, v43, s[30:31]
	v_cmp_lt_u64_e64 s[34:35], s[60:61], v[34:35]
	v_cmp_lt_u64_e64 s[36:37], s[60:61], v[36:37]
	v_bfe_u32 v44, v32, 23, 1
	v_cndmask_b32_e64 v40, v47, v40, s[22:23]
	s_and_b64 s[24:25], s[68:69], s[24:25]
	s_and_b64 s[28:29], s[62:63], s[28:29]
	;; [unrolled: 1-line block ×3, first 2 shown]
	v_add_u32_e32 v41, 7, v58
	v_cndmask_b32_e64 v42, v61, v42, s[34:35]
	v_bfe_u32 v45, v34, 23, 1
	s_and_b64 s[26:27], s[64:65], s[26:27]
	v_cndmask_b32_e64 v43, v44, v43, s[28:29]
	v_cndmask_b32_e64 v44, 0, 1, s[22:23]
	s_and_b64 s[22:23], s[24:25], s[36:37]
	v_cndmask_b32_e64 v41, v62, v41, s[36:37]
	v_bfe_u32 v46, v36, 23, 1
	v_cndmask_b32_e64 v42, v45, v42, s[26:27]
	v_cndmask_b32_e64 v45, 0, 1, s[22:23]
	s_and_b64 s[22:23], s[26:27], s[34:35]
	v_cndmask_b32_e64 v41, v46, v41, s[24:25]
	v_cndmask_b32_e64 v46, 0, 1, s[22:23]
	s_and_b64 s[22:23], s[28:29], s[30:31]
	v_and_b32_sdwa v7, v23, s79 dst_sel:DWORD dst_unused:UNUSED_PAD src0_sel:BYTE_3 src1_sel:DWORD
	v_cndmask_b32_e64 v47, 0, 1, s[22:23]
	s_and_b64 s[20:21], vcc, s[20:21]
	v_cmp_eq_u64_e32 vcc, 0, v[14:15]
	v_and_b32_sdwa v21, v25, s79 dst_sel:DWORD dst_unused:UNUSED_PAD src0_sel:BYTE_3 src1_sel:DWORD
	v_or_b32_e32 v26, 0x7e, v7
	v_cmp_eq_u32_e64 s[8:9], 0, v23
	v_lshrrev_b64 v[32:33], v47, v[32:33]
	s_and_b64 s[18:19], s[0:1], s[18:19]
	v_or_b32_sdwa v23, v23, s81 dst_sel:DWORD dst_unused:UNUSED_PAD src0_sel:BYTE_3 src1_sel:DWORD
	v_cmp_eq_u64_e64 s[0:1], 0, v[12:13]
	s_or_b64 vcc, s[20:21], vcc
	v_and_b32_sdwa v22, v27, s79 dst_sel:DWORD dst_unused:UNUSED_PAD src0_sel:BYTE_3 src1_sel:DWORD
	v_or_b32_e32 v29, 0x7e, v21
	v_cmp_eq_u32_e64 s[6:7], 0, v25
	v_lshrrev_b64 v[34:35], v46, v[34:35]
	v_lshrrev_b64 v[32:33], 20, v[32:33]
	v_cmp_gt_i32_e64 s[22:23], 16, v43
	s_and_b64 s[16:17], s[10:11], s[16:17]
	s_and_b64 s[14:15], s[12:13], s[14:15]
	v_or_b32_sdwa v25, v25, s81 dst_sel:DWORD dst_unused:UNUSED_PAD src0_sel:BYTE_3 src1_sel:DWORD
	v_cmp_eq_u64_e64 s[10:11], 0, v[10:11]
	v_cmp_eq_u64_e64 s[12:13], 0, v[4:5]
	v_cndmask_b32_e32 v4, v23, v26, vcc
	s_or_b64 vcc, s[18:19], s[0:1]
	s_and_b64 s[0:1], s[76:77], s[8:9]
	v_and_b32_sdwa v24, v28, s79 dst_sel:DWORD dst_unused:UNUSED_PAD src0_sel:BYTE_3 src1_sel:DWORD
	v_or_b32_e32 v30, 0x7e, v22
	v_cmp_eq_u32_e64 s[4:5], 0, v27
	v_lshrrev_b64 v[36:37], v45, v[36:37]
	v_lshrrev_b64 v[34:35], 20, v[34:35]
	v_cndmask_b32_e64 v33, 0, v33, s[22:23]
	v_cndmask_b32_e64 v32, 7, v32, s[22:23]
	v_cmp_gt_i32_e64 s[22:23], 16, v42
	v_or_b32_sdwa v27, v27, s81 dst_sel:DWORD dst_unused:UNUSED_PAD src0_sel:BYTE_3 src1_sel:DWORD
	v_cndmask_b32_e32 v10, v25, v29, vcc
	s_or_b64 vcc, s[16:17], s[10:11]
	v_cndmask_b32_e64 v4, v4, 0, s[0:1]
	s_and_b64 s[0:1], s[74:75], s[6:7]
	v_or_b32_e32 v31, 0x7e, v24
	v_cmp_eq_u32_e64 s[2:3], 0, v28
	v_lshrrev_b64 v[38:39], v44, v[38:39]
	v_lshrrev_b64 v[36:37], 20, v[36:37]
	v_cndmask_b32_e64 v35, 0, v35, s[22:23]
	v_cndmask_b32_e64 v34, 7, v34, s[22:23]
	v_cmp_gt_i32_e64 s[22:23], 16, v41
	v_cmp_eq_u32_e64 s[28:29], 0, v43
	v_cmp_eq_u64_e64 s[38:39], 0, v[32:33]
	v_or_b32_sdwa v28, v28, s81 dst_sel:DWORD dst_unused:UNUSED_PAD src0_sel:BYTE_3 src1_sel:DWORD
	v_cndmask_b32_e32 v11, v27, v30, vcc
	s_or_b64 vcc, s[14:15], s[12:13]
	v_cndmask_b32_e64 v10, v10, 0, s[0:1]
	s_and_b64 s[0:1], s[72:73], s[4:5]
	v_lshrrev_b64 v[38:39], 20, v[38:39]
	v_cndmask_b32_e64 v37, 0, v37, s[22:23]
	v_cndmask_b32_e64 v36, 7, v36, s[22:23]
	v_cmp_gt_i32_e64 s[22:23], 16, v40
	v_cmp_eq_u32_e64 s[26:27], 0, v42
	v_cmp_eq_u64_e64 s[36:37], 0, v[34:35]
	s_and_b64 s[28:29], s[28:29], s[38:39]
	v_cndmask_b32_e32 v12, v28, v31, vcc
	v_cndmask_b32_e64 v11, v11, 0, s[0:1]
	s_and_b64 s[0:1], s[66:67], s[2:3]
	v_cndmask_b32_e64 v39, 0, v39, s[22:23]
	v_cndmask_b32_e64 v38, 7, v38, s[22:23]
	v_cmp_eq_u32_e64 s[24:25], 0, v41
	v_cmp_eq_u64_e64 s[34:35], 0, v[36:37]
	s_and_b64 s[26:27], s[26:27], s[36:37]
	v_cndmask_b32_e64 v12, v12, 0, s[0:1]
	s_and_b64 vcc, s[62:63], s[28:29]
	v_cmp_eq_u32_e64 s[22:23], 0, v40
	v_cmp_eq_u64_e64 s[30:31], 0, v[38:39]
	s_and_b64 s[24:25], s[24:25], s[34:35]
	v_cndmask_b32_e32 v12, v12, v24, vcc
	s_and_b64 vcc, s[64:65], s[26:27]
	s_and_b64 s[22:23], s[22:23], s[30:31]
	v_min_i32_e32 v33, 15, v40
	v_cndmask_b32_e32 v11, v11, v22, vcc
	s_and_b64 vcc, s[68:69], s[24:25]
	s_xor_b64 s[30:31], s[22:23], -1
	v_min_i32_e32 v35, 15, v41
	v_lshl_or_b32 v33, v33, 3, v7
	v_cndmask_b32_e32 v10, v10, v21, vcc
	s_and_b64 vcc, s[70:71], s[22:23]
	s_xor_b64 s[34:35], s[24:25], -1
	v_lshl_or_b32 v35, v35, 3, v21
	v_and_or_b32 v33, v38, 7, v33
	v_cndmask_b32_e32 v4, v4, v7, vcc
	s_and_b64 vcc, s[70:71], s[30:31]
	v_min_i32_e32 v37, 15, v42
	v_and_or_b32 v35, v36, 7, v35
	v_cndmask_b32_e32 v4, v4, v33, vcc
	s_and_b64 vcc, s[68:69], s[34:35]
	s_xor_b64 s[36:37], s[26:27], -1
	v_min_i32_e32 v39, 15, v43
	v_lshl_or_b32 v37, v37, 3, v22
	v_cndmask_b32_e32 v7, v10, v35, vcc
	s_xor_b64 s[38:39], s[28:29], -1
	v_lshl_or_b32 v39, v39, 3, v24
	v_and_or_b32 v34, v34, 7, v37
	v_lshlrev_b16_e32 v7, 8, v7
	s_and_b64 vcc, s[64:65], s[36:37]
	v_and_or_b32 v32, v32, 7, v39
	v_or_b32_sdwa v4, v4, v7 dst_sel:DWORD dst_unused:UNUSED_PAD src0_sel:BYTE_0 src1_sel:DWORD
	v_cndmask_b32_e32 v7, v11, v34, vcc
	s_and_b64 vcc, s[62:63], s[38:39]
	v_cndmask_b32_e32 v10, v12, v32, vcc
	v_lshlrev_b16_e32 v10, 8, v10
	v_or_b32_sdwa v7, v7, v10 dst_sel:WORD_1 dst_unused:UNUSED_PAD src0_sel:BYTE_0 src1_sel:DWORD
	v_cmp_eq_u32_e32 vcc, 0, v20
	v_or_b32_sdwa v4, v4, v7 dst_sel:DWORD dst_unused:UNUSED_PAD src0_sel:WORD_0 src1_sel:DWORD
	s_or_b64 s[50:51], vcc, s[50:51]
	global_store_dword v[8:9], v4, off
	s_andn2_b64 exec, exec, s[50:51]
	s_cbranch_execnz .LBB18_1090
; %bb.1091:
	s_or_b64 exec, exec, s[50:51]
	v_cmp_ne_u32_e32 vcc, v1, v3
	v_readlane_b32 s60, v99, 3
	v_add_u32_e32 v2, v2, v3
	s_orn2_b64 s[0:1], vcc, exec
	v_readlane_b32 s62, v99, 5
	v_readlane_b32 s63, v99, 6
	v_readlane_b32 s66, v99, 9
	v_readlane_b32 s67, v99, 10
	s_mov_b32 s58, s82
	s_mov_b32 s59, s83
	v_readlane_b32 s61, v99, 4
	v_readlane_b32 s64, v99, 7
	;; [unrolled: 1-line block ×3, first 2 shown]
.LBB18_1092:
	s_or_b64 exec, exec, s[48:49]
	s_and_b64 exec, exec, s[0:1]
	s_cbranch_execz .LBB18_1111
; %bb.1093:
	s_lshl_b64 s[0:1], s[40:41], 1
	s_add_u32 s0, s88, s0
	s_addc_u32 s1, s89, s1
	v_ashrrev_i32_e32 v3, 31, v2
	s_add_u32 s0, s62, s0
	v_lshlrev_b64 v[6:7], 1, v[2:3]
	s_addc_u32 s1, s63, s1
	s_lshl_b32 s19, s86, 1
	v_add_co_u32_e32 v6, vcc, s0, v6
	s_add_u32 s0, s40, s90
	v_mov_b32_e32 v1, s1
	s_addc_u32 s1, s41, s87
	s_add_u32 s0, s0, s59
	s_addc_u32 s1, s1, s58
	s_add_u32 s0, s66, s0
	v_addc_co_u32_e32 v7, vcc, v1, v7, vcc
	s_addc_u32 s1, s67, s1
	v_mov_b32_e32 v4, s1
	v_add_co_u32_e32 v1, vcc, s0, v2
	s_mov_b32 s18, 0
	v_mov_b32_e32 v5, 0
	v_addc_co_u32_e32 v3, vcc, v4, v3, vcc
	s_mov_b64 s[2:3], 0
	s_movk_i32 s20, 0x80
	s_mov_b64 s[4:5], 0x7f800000
	s_mov_b64 s[6:7], 0x43e00001
	s_movk_i32 s21, 0x7a
	s_mov_b64 s[8:9], 0xffffff
	s_movk_i32 s22, 0x7f
	v_mov_b32_e32 v10, 0xffffff82
	v_mov_b32_e32 v11, 0x78
	s_mov_b64 s[10:11], 0
	s_branch .LBB18_1095
.LBB18_1094:                            ;   in Loop: Header=BB18_1095 Depth=1
	s_or_b64 exec, exec, s[0:1]
	v_mov_b32_e32 v4, s11
	v_add_co_u32_e32 v12, vcc, s10, v1
	s_add_u32 s10, s10, s86
	v_addc_co_u32_e32 v13, vcc, v3, v4, vcc
	v_add_u32_e32 v4, s10, v2
	s_addc_u32 s11, s11, 0
	v_cmp_le_i32_e32 vcc, s43, v4
	v_mov_b32_e32 v8, s18
	s_or_b64 s[2:3], vcc, s[2:3]
	v_add_co_u32_e32 v6, vcc, s19, v6
	v_addc_co_u32_e32 v7, vcc, v7, v8, vcc
	global_store_byte v[12:13], v9, off
	s_andn2_b64 exec, exec, s[2:3]
	s_cbranch_execz .LBB18_1111
.LBB18_1095:                            ; =>This Inner Loop Header: Depth=1
	global_load_ushort v4, v[6:7], off
	v_mov_b32_e32 v15, v5
	s_waitcnt vmcnt(0)
	v_cvt_f32_f16_e32 v4, v4
	v_div_scale_f32 v8, s[0:1], s33, s33, v4
	v_rcp_f32_e32 v9, v8
	v_div_scale_f32 v12, vcc, v4, s33, v4
	v_fma_f32 v13, -v8, v9, 1.0
	v_fmac_f32_e32 v9, v13, v9
	v_mul_f32_e32 v13, v12, v9
	v_fma_f32 v14, -v8, v13, v12
	v_fmac_f32_e32 v13, v14, v9
	v_fma_f32 v8, -v8, v13, v12
	v_div_fmas_f32 v8, v8, v9, v13
	v_div_fixup_f32 v4, v8, s33, v4
	v_cvt_f16_f32_e32 v4, v4
	v_cvt_f32_f16_e32 v8, v4
	v_and_b32_sdwa v12, v8, s20 dst_sel:DWORD dst_unused:UNUSED_PAD src0_sel:BYTE_3 src1_sel:DWORD
	v_and_b32_e32 v14, 0x7f800000, v8
	v_and_b32_e32 v4, 0x7fffff, v8
	v_or_b32_e32 v9, 0x7e, v12
	v_cmp_ne_u64_e32 vcc, s[4:5], v[14:15]
	s_and_saveexec_b64 s[0:1], vcc
	s_xor_b64 s[12:13], exec, s[0:1]
	s_cbranch_execz .LBB18_1109
; %bb.1096:                             ;   in Loop: Header=BB18_1095 Depth=1
	v_and_b32_e32 v14, 0x7fffffff, v8
	v_mov_b32_e32 v15, v5
	v_cmp_gt_u64_e32 vcc, s[6:7], v[14:15]
	s_and_saveexec_b64 s[0:1], vcc
	s_xor_b64 s[14:15], exec, s[0:1]
	s_cbranch_execz .LBB18_1108
; %bb.1097:                             ;   in Loop: Header=BB18_1095 Depth=1
	v_cmp_ne_u32_e32 vcc, 0, v8
	v_mov_b32_e32 v9, 0
	s_and_saveexec_b64 s[16:17], vcc
	s_cbranch_execz .LBB18_1107
; %bb.1098:                             ;   in Loop: Header=BB18_1095 Depth=1
	v_bfe_u32 v8, v8, 23, 8
	v_sub_u32_e32 v13, 0x79, v8
	v_cmp_gt_u32_e32 vcc, s21, v8
	v_cndmask_b32_e32 v13, 0, v13, vcc
	v_cmp_eq_u32_e32 vcc, 0, v8
	v_cndmask_b32_e32 v13, v13, v11, vcc
	v_add_u32_e32 v9, 0xffffff81, v8
	v_or_b32_e32 v14, 0x800000, v4
	v_add_u32_e32 v8, 20, v13
	v_cndmask_b32_e32 v15, v9, v10, vcc
	v_cndmask_b32_e32 v4, v14, v4, vcc
	v_lshlrev_b64 v[8:9], v8, -1
	v_not_b32_e32 v8, v8
	v_lshrrev_b64 v[18:19], v13, v[4:5]
	v_not_b32_e32 v9, v9
	v_and_b32_e32 v8, v4, v8
	v_add_u32_e32 v14, 19, v13
	v_lshrrev_b32_e32 v4, 23, v18
	v_and_b32_e32 v9, 0, v9
	v_lshlrev_b64 v[16:17], v14, 1
	v_add3_u32 v14, v13, v15, v4
	v_bfe_u32 v4, v18, 20, 1
	v_add_u32_e32 v4, -1, v4
	v_cmp_eq_u64_e32 vcc, v[8:9], v[16:17]
	v_cndmask_b32_e32 v4, 0, v4, vcc
	v_add_u32_e32 v4, v4, v18
	v_and_b32_e32 v4, 0xfffff, v4
	v_add_co_u32_e32 v8, vcc, v4, v18
	v_add_u32_e32 v13, 6, v14
	v_addc_co_u32_e32 v9, vcc, 0, v19, vcc
	v_cmp_ne_u32_e32 vcc, 0, v13
                                        ; implicit-def: $vgpr4
	s_and_saveexec_b64 s[0:1], vcc
	s_xor_b64 s[0:1], exec, s[0:1]
; %bb.1099:                             ;   in Loop: Header=BB18_1095 Depth=1
	v_add_u32_e32 v4, 7, v14
	v_cmp_lt_u64_e32 vcc, s[8:9], v[8:9]
	v_cndmask_b32_e32 v4, v13, v4, vcc
	v_cndmask_b32_e64 v13, 0, 1, vcc
	v_lshrrev_b64 v[8:9], v13, v[8:9]
; %bb.1100:                             ;   in Loop: Header=BB18_1095 Depth=1
	s_andn2_saveexec_b64 s[0:1], s[0:1]
; %bb.1101:                             ;   in Loop: Header=BB18_1095 Depth=1
	v_bfe_u32 v4, v8, 23, 1
; %bb.1102:                             ;   in Loop: Header=BB18_1095 Depth=1
	s_or_b64 exec, exec, s[0:1]
	v_lshrrev_b64 v[8:9], 20, v[8:9]
	v_cmp_gt_i32_e32 vcc, 16, v4
	v_cndmask_b32_e32 v9, 0, v9, vcc
	v_cndmask_b32_e32 v8, 7, v8, vcc
	v_cmp_ne_u32_e32 vcc, 0, v4
	v_cmp_ne_u64_e64 s[0:1], 0, v[8:9]
	s_or_b64 s[0:1], vcc, s[0:1]
                                        ; implicit-def: $vgpr9
	s_and_saveexec_b64 s[24:25], s[0:1]
	s_xor_b64 s[0:1], exec, s[24:25]
; %bb.1103:                             ;   in Loop: Header=BB18_1095 Depth=1
	v_min_i32_e32 v4, 15, v4
	v_lshl_or_b32 v4, v4, 3, v12
	v_and_or_b32 v9, v8, 7, v4
                                        ; implicit-def: $vgpr12
; %bb.1104:                             ;   in Loop: Header=BB18_1095 Depth=1
	s_andn2_saveexec_b64 s[0:1], s[0:1]
; %bb.1105:                             ;   in Loop: Header=BB18_1095 Depth=1
	v_mov_b32_e32 v9, v12
; %bb.1106:                             ;   in Loop: Header=BB18_1095 Depth=1
	s_or_b64 exec, exec, s[0:1]
.LBB18_1107:                            ;   in Loop: Header=BB18_1095 Depth=1
	s_or_b64 exec, exec, s[16:17]
.LBB18_1108:                            ;   in Loop: Header=BB18_1095 Depth=1
	s_andn2_saveexec_b64 s[0:1], s[14:15]
	s_or_b64 exec, exec, s[0:1]
                                        ; implicit-def: $vgpr8
.LBB18_1109:                            ;   in Loop: Header=BB18_1095 Depth=1
	s_andn2_saveexec_b64 s[0:1], s[12:13]
	s_cbranch_execz .LBB18_1094
; %bb.1110:                             ;   in Loop: Header=BB18_1095 Depth=1
	v_or_b32_sdwa v8, v8, s22 dst_sel:DWORD dst_unused:UNUSED_PAD src0_sel:BYTE_3 src1_sel:DWORD
	v_cmp_eq_u64_e32 vcc, 0, v[4:5]
	v_cndmask_b32_e32 v9, v8, v9, vcc
	s_branch .LBB18_1094
.LBB18_1111:
	s_or_b64 exec, exec, s[44:45]
	s_mov_b64 s[0:1], 0
.LBB18_1112:
	s_and_b64 vcc, exec, s[0:1]
	s_cbranch_vccz .LBB18_1244
; %bb.1113:
	s_ashr_i32 s16, s42, 3
	v_cmp_gt_i32_e32 vcc, s16, v0
	s_and_saveexec_b64 s[0:1], vcc
	s_cbranch_execz .LBB18_1244
; %bb.1114:
	s_add_u32 s0, s90, s59
	s_addc_u32 s1, s87, s58
	s_add_u32 s0, s66, s0
	v_lshlrev_b32_e32 v1, 3, v0
	s_addc_u32 s1, s67, s1
	s_lshl_b32 s18, s86, 3
	v_mov_b32_e32 v2, s1
	v_add_co_u32_e32 v6, vcc, s0, v1
	s_add_u32 s0, s62, s88
	v_addc_co_u32_e32 v7, vcc, 0, v2, vcc
	v_lshlrev_b32_e32 v1, 4, v0
	s_addc_u32 s1, s63, s89
	s_mov_b32 s17, 0
	v_mov_b32_e32 v2, s1
	v_add_co_u32_e32 v8, vcc, s0, v1
	v_addc_co_u32_e32 v9, vcc, 0, v2, vcc
	s_lshl_b32 s19, s86, 4
	s_mov_b32 s20, s17
	s_mov_b64 s[2:3], 0
	v_mov_b32_e32 v11, 0
	s_movk_i32 s21, 0x80
	s_mov_b64 s[4:5], 0x7f800000
	s_mov_b64 s[6:7], 0x43e00001
	s_movk_i32 s22, 0x7a
	s_mov_b64 s[8:9], 0xffffff
	s_movk_i32 s23, 0x7f
	s_mov_b32 s24, 0xff00
	s_mov_b32 s25, 0x4020c0c
	v_mov_b32_e32 v1, 0xffffff82
	v_mov_b32_e32 v28, 0x78
	s_branch .LBB18_1116
.LBB18_1115:                            ;   in Loop: Header=BB18_1116 Depth=1
	s_or_b64 exec, exec, s[0:1]
	v_lshlrev_b32_e32 v4, 16, v22
	v_lshlrev_b32_e32 v3, 24, v24
	v_and_b32_e32 v4, 0xff0000, v4
	v_or_b32_e32 v3, v3, v4
	v_lshlrev_b32_e32 v4, 8, v20
	v_and_b32_e32 v4, 0xff00, v4
	v_and_b32_e32 v5, 0xff, v18
	v_or3_b32 v3, v3, v4, v5
	v_lshlrev_b32_e32 v4, 16, v16
	v_lshlrev_b32_e32 v5, 8, v14
	v_perm_b32 v2, v2, v4, s25
	v_and_or_b32 v2, v5, s24, v2
	v_or_b32_sdwa v2, v2, v12 dst_sel:DWORD dst_unused:UNUSED_PAD src0_sel:DWORD src1_sel:BYTE_0
	global_store_dwordx2 v[6:7], v[2:3], off
	v_mov_b32_e32 v2, s17
	v_add_co_u32_e32 v6, vcc, s18, v6
	v_add_u32_e32 v0, s86, v0
	v_addc_co_u32_e32 v7, vcc, v7, v2, vcc
	v_cmp_le_i32_e32 vcc, s16, v0
	v_mov_b32_e32 v2, s20
	s_or_b64 s[2:3], vcc, s[2:3]
	v_add_co_u32_e32 v8, vcc, s19, v8
	v_addc_co_u32_e32 v9, vcc, v9, v2, vcc
	s_andn2_b64 exec, exec, s[2:3]
	s_cbranch_execz .LBB18_1244
.LBB18_1116:                            ; =>This Inner Loop Header: Depth=1
	global_load_dwordx4 v[2:5], v[8:9], off
	v_mov_b32_e32 v17, v11
	s_waitcnt vmcnt(0)
	v_cvt_f32_f16_e32 v10, v2
	v_div_scale_f32 v12, s[0:1], s33, s33, v10
	v_rcp_f32_e32 v13, v12
	v_div_scale_f32 v14, vcc, v10, s33, v10
	v_fma_f32 v15, -v12, v13, 1.0
	v_fmac_f32_e32 v13, v15, v13
	v_mul_f32_e32 v15, v14, v13
	v_fma_f32 v16, -v12, v15, v14
	v_fmac_f32_e32 v15, v16, v13
	v_fma_f32 v12, -v12, v15, v14
	v_div_fmas_f32 v12, v12, v13, v15
	v_div_fixup_f32 v10, v12, s33, v10
	v_cvt_f16_f32_e32 v10, v10
	v_cvt_f32_f16_e32 v15, v10
	v_and_b32_sdwa v14, v15, s21 dst_sel:DWORD dst_unused:UNUSED_PAD src0_sel:BYTE_3 src1_sel:DWORD
	v_and_b32_e32 v16, 0x7f800000, v15
	v_and_b32_e32 v10, 0x7fffff, v15
	v_or_b32_e32 v12, 0x7e, v14
	v_cmp_ne_u64_e32 vcc, s[4:5], v[16:17]
	s_and_saveexec_b64 s[0:1], vcc
	s_xor_b64 s[10:11], exec, s[0:1]
	s_cbranch_execz .LBB18_1130
; %bb.1117:                             ;   in Loop: Header=BB18_1116 Depth=1
	v_and_b32_e32 v16, 0x7fffffff, v15
	v_mov_b32_e32 v17, v11
	v_cmp_gt_u64_e32 vcc, s[6:7], v[16:17]
	s_and_saveexec_b64 s[0:1], vcc
	s_xor_b64 s[12:13], exec, s[0:1]
	s_cbranch_execz .LBB18_1129
; %bb.1118:                             ;   in Loop: Header=BB18_1116 Depth=1
	v_cmp_ne_u32_e32 vcc, 0, v15
	v_pk_mov_b32 v[12:13], 0, 0
	s_and_saveexec_b64 s[14:15], vcc
	s_cbranch_execz .LBB18_1128
; %bb.1119:                             ;   in Loop: Header=BB18_1116 Depth=1
	v_bfe_u32 v12, v15, 23, 8
	v_sub_u32_e32 v15, 0x79, v12
	v_cmp_gt_u32_e32 vcc, s22, v12
	v_cndmask_b32_e32 v15, 0, v15, vcc
	v_cmp_eq_u32_e32 vcc, 0, v12
	v_cndmask_b32_e32 v15, v15, v28, vcc
	v_add_u32_e32 v13, 0xffffff81, v12
	v_or_b32_e32 v16, 0x800000, v10
	v_add_u32_e32 v12, 20, v15
	v_cndmask_b32_e32 v17, v13, v1, vcc
	v_cndmask_b32_e32 v10, v16, v10, vcc
	v_lshlrev_b64 v[12:13], v12, -1
	v_not_b32_e32 v12, v12
	v_lshrrev_b64 v[20:21], v15, v[10:11]
	v_not_b32_e32 v13, v13
	v_and_b32_e32 v12, v10, v12
	v_add_u32_e32 v16, 19, v15
	v_lshrrev_b32_e32 v10, 23, v20
	v_and_b32_e32 v13, 0, v13
	v_lshlrev_b64 v[18:19], v16, 1
	v_add3_u32 v16, v15, v17, v10
	v_bfe_u32 v10, v20, 20, 1
	v_add_u32_e32 v10, -1, v10
	v_cmp_eq_u64_e32 vcc, v[12:13], v[18:19]
	v_cndmask_b32_e32 v10, 0, v10, vcc
	v_add_u32_e32 v10, v10, v20
	v_and_b32_e32 v10, 0xfffff, v10
	v_add_co_u32_e32 v12, vcc, v10, v20
	v_add_u32_e32 v15, 6, v16
	v_addc_co_u32_e32 v13, vcc, 0, v21, vcc
	v_cmp_ne_u32_e32 vcc, 0, v15
                                        ; implicit-def: $vgpr10
	s_and_saveexec_b64 s[0:1], vcc
	s_xor_b64 s[0:1], exec, s[0:1]
; %bb.1120:                             ;   in Loop: Header=BB18_1116 Depth=1
	v_add_u32_e32 v10, 7, v16
	v_cmp_lt_u64_e32 vcc, s[8:9], v[12:13]
	v_cndmask_b32_e32 v10, v15, v10, vcc
	v_cndmask_b32_e64 v15, 0, 1, vcc
	v_lshrrev_b64 v[12:13], v15, v[12:13]
; %bb.1121:                             ;   in Loop: Header=BB18_1116 Depth=1
	s_andn2_saveexec_b64 s[0:1], s[0:1]
; %bb.1122:                             ;   in Loop: Header=BB18_1116 Depth=1
	v_bfe_u32 v10, v12, 23, 1
; %bb.1123:                             ;   in Loop: Header=BB18_1116 Depth=1
	s_or_b64 exec, exec, s[0:1]
	v_lshrrev_b64 v[12:13], 20, v[12:13]
	v_cmp_gt_i32_e32 vcc, 16, v10
	v_cndmask_b32_e32 v17, 0, v13, vcc
	v_cndmask_b32_e32 v16, 7, v12, vcc
	v_cmp_ne_u32_e32 vcc, 0, v10
	v_cmp_ne_u64_e64 s[0:1], 0, v[16:17]
	s_or_b64 s[0:1], vcc, s[0:1]
                                        ; implicit-def: $vgpr12_vgpr13
	s_and_saveexec_b64 s[26:27], s[0:1]
	s_xor_b64 s[0:1], exec, s[26:27]
; %bb.1124:                             ;   in Loop: Header=BB18_1116 Depth=1
	v_min_i32_e32 v10, 15, v10
	v_lshl_or_b32 v10, v10, 3, v14
	v_and_or_b32 v12, v16, 7, v10
                                        ; implicit-def: $vgpr14
; %bb.1125:                             ;   in Loop: Header=BB18_1116 Depth=1
	s_andn2_saveexec_b64 s[0:1], s[0:1]
; %bb.1126:                             ;   in Loop: Header=BB18_1116 Depth=1
	v_pk_mov_b32 v[12:13], v[14:15], v[14:15] op_sel:[0,1]
; %bb.1127:                             ;   in Loop: Header=BB18_1116 Depth=1
	s_or_b64 exec, exec, s[0:1]
.LBB18_1128:                            ;   in Loop: Header=BB18_1116 Depth=1
	s_or_b64 exec, exec, s[14:15]
.LBB18_1129:                            ;   in Loop: Header=BB18_1116 Depth=1
	s_andn2_saveexec_b64 s[0:1], s[12:13]
	s_or_b64 exec, exec, s[0:1]
                                        ; implicit-def: $vgpr15
.LBB18_1130:                            ;   in Loop: Header=BB18_1116 Depth=1
	s_andn2_saveexec_b64 s[0:1], s[10:11]
; %bb.1131:                             ;   in Loop: Header=BB18_1116 Depth=1
	v_or_b32_sdwa v13, v15, s23 dst_sel:DWORD dst_unused:UNUSED_PAD src0_sel:BYTE_3 src1_sel:DWORD
	v_cmp_eq_u64_e32 vcc, 0, v[10:11]
	v_cndmask_b32_e32 v12, v13, v12, vcc
; %bb.1132:                             ;   in Loop: Header=BB18_1116 Depth=1
	s_or_b64 exec, exec, s[0:1]
	v_cvt_f32_f16_sdwa v2, v2 dst_sel:DWORD dst_unused:UNUSED_PAD src0_sel:WORD_1
	v_mov_b32_e32 v17, v11
	v_div_scale_f32 v10, s[0:1], s33, s33, v2
	v_rcp_f32_e32 v13, v10
	v_div_scale_f32 v14, vcc, v2, s33, v2
	v_fma_f32 v15, -v10, v13, 1.0
	v_fmac_f32_e32 v13, v15, v13
	v_mul_f32_e32 v15, v14, v13
	v_fma_f32 v16, -v10, v15, v14
	v_fmac_f32_e32 v15, v16, v13
	v_fma_f32 v10, -v10, v15, v14
	v_div_fmas_f32 v10, v10, v13, v15
	v_div_fixup_f32 v2, v10, s33, v2
	v_cvt_f16_f32_e32 v2, v2
	v_cvt_f32_f16_e32 v13, v2
	v_and_b32_sdwa v2, v13, s21 dst_sel:DWORD dst_unused:UNUSED_PAD src0_sel:BYTE_3 src1_sel:DWORD
	v_and_b32_e32 v16, 0x7f800000, v13
	v_and_b32_e32 v10, 0x7fffff, v13
	v_or_b32_e32 v14, 0x7e, v2
	v_cmp_ne_u64_e32 vcc, s[4:5], v[16:17]
	s_and_saveexec_b64 s[0:1], vcc
	s_xor_b64 s[10:11], exec, s[0:1]
	s_cbranch_execz .LBB18_1146
; %bb.1133:                             ;   in Loop: Header=BB18_1116 Depth=1
	v_and_b32_e32 v16, 0x7fffffff, v13
	v_mov_b32_e32 v17, v11
	v_cmp_gt_u64_e32 vcc, s[6:7], v[16:17]
	s_and_saveexec_b64 s[0:1], vcc
	s_xor_b64 s[12:13], exec, s[0:1]
	s_cbranch_execz .LBB18_1145
; %bb.1134:                             ;   in Loop: Header=BB18_1116 Depth=1
	v_cmp_ne_u32_e32 vcc, 0, v13
	v_pk_mov_b32 v[14:15], 0, 0
	s_and_saveexec_b64 s[14:15], vcc
	s_cbranch_execz .LBB18_1144
; %bb.1135:                             ;   in Loop: Header=BB18_1116 Depth=1
	v_bfe_u32 v13, v13, 23, 8
	v_sub_u32_e32 v15, 0x79, v13
	v_cmp_gt_u32_e32 vcc, s22, v13
	v_cndmask_b32_e32 v15, 0, v15, vcc
	v_cmp_eq_u32_e32 vcc, 0, v13
	v_add_u32_e32 v14, 0xffffff81, v13
	v_cndmask_b32_e32 v17, v15, v28, vcc
	v_or_b32_e32 v16, 0x800000, v10
	v_cndmask_b32_e32 v13, v14, v1, vcc
	v_add_u32_e32 v14, 20, v17
	v_cndmask_b32_e32 v10, v16, v10, vcc
	v_lshlrev_b64 v[14:15], v14, -1
	v_not_b32_e32 v14, v14
	v_lshrrev_b64 v[20:21], v17, v[10:11]
	v_not_b32_e32 v15, v15
	v_and_b32_e32 v14, v10, v14
	v_add_u32_e32 v16, 19, v17
	v_lshrrev_b32_e32 v10, 23, v20
	v_and_b32_e32 v15, 0, v15
	v_lshlrev_b64 v[18:19], v16, 1
	v_add3_u32 v16, v17, v13, v10
	v_bfe_u32 v10, v20, 20, 1
	v_add_u32_e32 v10, -1, v10
	v_cmp_eq_u64_e32 vcc, v[14:15], v[18:19]
	v_cndmask_b32_e32 v10, 0, v10, vcc
	v_add_u32_e32 v10, v10, v20
	v_and_b32_e32 v10, 0xfffff, v10
	v_add_co_u32_e32 v14, vcc, v10, v20
	v_add_u32_e32 v13, 6, v16
	v_addc_co_u32_e32 v15, vcc, 0, v21, vcc
	v_cmp_ne_u32_e32 vcc, 0, v13
                                        ; implicit-def: $vgpr10
	s_and_saveexec_b64 s[0:1], vcc
	s_xor_b64 s[0:1], exec, s[0:1]
; %bb.1136:                             ;   in Loop: Header=BB18_1116 Depth=1
	v_add_u32_e32 v10, 7, v16
	v_cmp_lt_u64_e32 vcc, s[8:9], v[14:15]
	v_cndmask_b32_e32 v10, v13, v10, vcc
	v_cndmask_b32_e64 v13, 0, 1, vcc
	v_lshrrev_b64 v[14:15], v13, v[14:15]
; %bb.1137:                             ;   in Loop: Header=BB18_1116 Depth=1
	s_andn2_saveexec_b64 s[0:1], s[0:1]
; %bb.1138:                             ;   in Loop: Header=BB18_1116 Depth=1
	v_bfe_u32 v10, v14, 23, 1
; %bb.1139:                             ;   in Loop: Header=BB18_1116 Depth=1
	s_or_b64 exec, exec, s[0:1]
	v_lshrrev_b64 v[14:15], 20, v[14:15]
	v_cmp_gt_i32_e32 vcc, 16, v10
	v_cndmask_b32_e32 v17, 0, v15, vcc
	v_cndmask_b32_e32 v16, 7, v14, vcc
	v_cmp_ne_u32_e32 vcc, 0, v10
	v_cmp_ne_u64_e64 s[0:1], 0, v[16:17]
	s_or_b64 s[0:1], vcc, s[0:1]
                                        ; implicit-def: $vgpr14_vgpr15
	s_and_saveexec_b64 s[26:27], s[0:1]
	s_xor_b64 s[0:1], exec, s[26:27]
; %bb.1140:                             ;   in Loop: Header=BB18_1116 Depth=1
	v_min_i32_e32 v10, 15, v10
	v_lshl_or_b32 v2, v10, 3, v2
	v_and_or_b32 v14, v16, 7, v2
                                        ; implicit-def: $vgpr2
; %bb.1141:                             ;   in Loop: Header=BB18_1116 Depth=1
	s_andn2_saveexec_b64 s[0:1], s[0:1]
; %bb.1142:                             ;   in Loop: Header=BB18_1116 Depth=1
	v_pk_mov_b32 v[14:15], v[2:3], v[2:3] op_sel:[0,1]
; %bb.1143:                             ;   in Loop: Header=BB18_1116 Depth=1
	s_or_b64 exec, exec, s[0:1]
.LBB18_1144:                            ;   in Loop: Header=BB18_1116 Depth=1
	s_or_b64 exec, exec, s[14:15]
.LBB18_1145:                            ;   in Loop: Header=BB18_1116 Depth=1
	s_andn2_saveexec_b64 s[0:1], s[12:13]
	s_or_b64 exec, exec, s[0:1]
                                        ; implicit-def: $vgpr13
.LBB18_1146:                            ;   in Loop: Header=BB18_1116 Depth=1
	s_andn2_saveexec_b64 s[0:1], s[10:11]
; %bb.1147:                             ;   in Loop: Header=BB18_1116 Depth=1
	v_or_b32_sdwa v2, v13, s23 dst_sel:DWORD dst_unused:UNUSED_PAD src0_sel:BYTE_3 src1_sel:DWORD
	v_cmp_eq_u64_e32 vcc, 0, v[10:11]
	v_cndmask_b32_e32 v14, v2, v14, vcc
; %bb.1148:                             ;   in Loop: Header=BB18_1116 Depth=1
	s_or_b64 exec, exec, s[0:1]
	v_cvt_f32_f16_e32 v2, v3
	v_mov_b32_e32 v19, v11
	v_div_scale_f32 v10, s[0:1], s33, s33, v2
	v_rcp_f32_e32 v13, v10
	v_div_scale_f32 v15, vcc, v2, s33, v2
	v_fma_f32 v16, -v10, v13, 1.0
	v_fmac_f32_e32 v13, v16, v13
	v_mul_f32_e32 v16, v15, v13
	v_fma_f32 v17, -v10, v16, v15
	v_fmac_f32_e32 v16, v17, v13
	v_fma_f32 v10, -v10, v16, v15
	v_div_fmas_f32 v10, v10, v13, v16
	v_div_fixup_f32 v2, v10, s33, v2
	v_cvt_f16_f32_e32 v2, v2
	v_cvt_f32_f16_e32 v13, v2
	v_and_b32_sdwa v2, v13, s21 dst_sel:DWORD dst_unused:UNUSED_PAD src0_sel:BYTE_3 src1_sel:DWORD
	v_and_b32_e32 v18, 0x7f800000, v13
	v_and_b32_e32 v10, 0x7fffff, v13
	v_or_b32_e32 v16, 0x7e, v2
	v_cmp_ne_u64_e32 vcc, s[4:5], v[18:19]
	s_and_saveexec_b64 s[0:1], vcc
	s_xor_b64 s[10:11], exec, s[0:1]
	s_cbranch_execz .LBB18_1162
; %bb.1149:                             ;   in Loop: Header=BB18_1116 Depth=1
	v_and_b32_e32 v18, 0x7fffffff, v13
	v_mov_b32_e32 v19, v11
	v_cmp_gt_u64_e32 vcc, s[6:7], v[18:19]
	s_and_saveexec_b64 s[0:1], vcc
	s_xor_b64 s[12:13], exec, s[0:1]
	s_cbranch_execz .LBB18_1161
; %bb.1150:                             ;   in Loop: Header=BB18_1116 Depth=1
	v_cmp_ne_u32_e32 vcc, 0, v13
	v_pk_mov_b32 v[16:17], 0, 0
	s_and_saveexec_b64 s[14:15], vcc
	s_cbranch_execz .LBB18_1160
; %bb.1151:                             ;   in Loop: Header=BB18_1116 Depth=1
	v_bfe_u32 v13, v13, 23, 8
	v_sub_u32_e32 v16, 0x79, v13
	v_cmp_gt_u32_e32 vcc, s22, v13
	v_add_u32_e32 v15, 0xffffff81, v13
	v_cndmask_b32_e32 v16, 0, v16, vcc
	v_cmp_eq_u32_e32 vcc, 0, v13
	v_cndmask_b32_e32 v13, v15, v1, vcc
	v_cndmask_b32_e32 v15, v16, v28, vcc
	v_or_b32_e32 v17, 0x800000, v10
	v_add_u32_e32 v16, 20, v15
	v_cndmask_b32_e32 v10, v17, v10, vcc
	v_lshlrev_b64 v[16:17], v16, -1
	v_not_b32_e32 v16, v16
	v_lshrrev_b64 v[20:21], v15, v[10:11]
	v_not_b32_e32 v17, v17
	v_and_b32_e32 v16, v10, v16
	v_add_u32_e32 v18, 19, v15
	v_lshrrev_b32_e32 v10, 23, v20
	v_and_b32_e32 v17, 0, v17
	v_lshlrev_b64 v[18:19], v18, 1
	v_add3_u32 v15, v15, v13, v10
	v_bfe_u32 v10, v20, 20, 1
	v_add_u32_e32 v10, -1, v10
	v_cmp_eq_u64_e32 vcc, v[16:17], v[18:19]
	v_cndmask_b32_e32 v10, 0, v10, vcc
	v_add_u32_e32 v10, v10, v20
	v_and_b32_e32 v10, 0xfffff, v10
	v_add_co_u32_e32 v16, vcc, v10, v20
	v_add_u32_e32 v13, 6, v15
	v_addc_co_u32_e32 v17, vcc, 0, v21, vcc
	v_cmp_ne_u32_e32 vcc, 0, v13
                                        ; implicit-def: $vgpr10
	s_and_saveexec_b64 s[0:1], vcc
	s_xor_b64 s[0:1], exec, s[0:1]
; %bb.1152:                             ;   in Loop: Header=BB18_1116 Depth=1
	v_add_u32_e32 v10, 7, v15
	v_cmp_lt_u64_e32 vcc, s[8:9], v[16:17]
	v_cndmask_b32_e32 v10, v13, v10, vcc
	v_cndmask_b32_e64 v13, 0, 1, vcc
	v_lshrrev_b64 v[16:17], v13, v[16:17]
; %bb.1153:                             ;   in Loop: Header=BB18_1116 Depth=1
	s_andn2_saveexec_b64 s[0:1], s[0:1]
; %bb.1154:                             ;   in Loop: Header=BB18_1116 Depth=1
	v_bfe_u32 v10, v16, 23, 1
; %bb.1155:                             ;   in Loop: Header=BB18_1116 Depth=1
	s_or_b64 exec, exec, s[0:1]
	v_lshrrev_b64 v[16:17], 20, v[16:17]
	v_cmp_gt_i32_e32 vcc, 16, v10
	v_cndmask_b32_e32 v19, 0, v17, vcc
	v_cndmask_b32_e32 v18, 7, v16, vcc
	v_cmp_ne_u32_e32 vcc, 0, v10
	v_cmp_ne_u64_e64 s[0:1], 0, v[18:19]
	s_or_b64 s[0:1], vcc, s[0:1]
                                        ; implicit-def: $vgpr16_vgpr17
	s_and_saveexec_b64 s[26:27], s[0:1]
	s_xor_b64 s[0:1], exec, s[26:27]
; %bb.1156:                             ;   in Loop: Header=BB18_1116 Depth=1
	v_min_i32_e32 v10, 15, v10
	v_lshl_or_b32 v2, v10, 3, v2
	v_and_or_b32 v16, v18, 7, v2
                                        ; implicit-def: $vgpr2
; %bb.1157:                             ;   in Loop: Header=BB18_1116 Depth=1
	s_andn2_saveexec_b64 s[0:1], s[0:1]
; %bb.1158:                             ;   in Loop: Header=BB18_1116 Depth=1
	v_pk_mov_b32 v[16:17], v[2:3], v[2:3] op_sel:[0,1]
; %bb.1159:                             ;   in Loop: Header=BB18_1116 Depth=1
	s_or_b64 exec, exec, s[0:1]
.LBB18_1160:                            ;   in Loop: Header=BB18_1116 Depth=1
	s_or_b64 exec, exec, s[14:15]
.LBB18_1161:                            ;   in Loop: Header=BB18_1116 Depth=1
	s_andn2_saveexec_b64 s[0:1], s[12:13]
	s_or_b64 exec, exec, s[0:1]
                                        ; implicit-def: $vgpr13
.LBB18_1162:                            ;   in Loop: Header=BB18_1116 Depth=1
	s_andn2_saveexec_b64 s[0:1], s[10:11]
; %bb.1163:                             ;   in Loop: Header=BB18_1116 Depth=1
	v_or_b32_sdwa v2, v13, s23 dst_sel:DWORD dst_unused:UNUSED_PAD src0_sel:BYTE_3 src1_sel:DWORD
	v_cmp_eq_u64_e32 vcc, 0, v[10:11]
	v_cndmask_b32_e32 v16, v2, v16, vcc
; %bb.1164:                             ;   in Loop: Header=BB18_1116 Depth=1
	s_or_b64 exec, exec, s[0:1]
	v_cvt_f32_f16_sdwa v2, v3 dst_sel:DWORD dst_unused:UNUSED_PAD src0_sel:WORD_1
	v_mov_b32_e32 v21, v11
	v_div_scale_f32 v3, s[0:1], s33, s33, v2
	v_rcp_f32_e32 v10, v3
	v_div_scale_f32 v13, vcc, v2, s33, v2
	v_fma_f32 v15, -v3, v10, 1.0
	v_fmac_f32_e32 v10, v15, v10
	v_mul_f32_e32 v15, v13, v10
	v_fma_f32 v17, -v3, v15, v13
	v_fmac_f32_e32 v15, v17, v10
	v_fma_f32 v3, -v3, v15, v13
	v_div_fmas_f32 v3, v3, v10, v15
	v_div_fixup_f32 v2, v3, s33, v2
	v_cvt_f16_f32_e32 v2, v2
	v_cvt_f32_f16_e32 v13, v2
	v_and_b32_sdwa v18, v13, s21 dst_sel:DWORD dst_unused:UNUSED_PAD src0_sel:BYTE_3 src1_sel:DWORD
	v_and_b32_e32 v20, 0x7f800000, v13
	v_and_b32_e32 v10, 0x7fffff, v13
	v_or_b32_e32 v2, 0x7e, v18
	v_cmp_ne_u64_e32 vcc, s[4:5], v[20:21]
	s_and_saveexec_b64 s[0:1], vcc
	s_xor_b64 s[10:11], exec, s[0:1]
	s_cbranch_execz .LBB18_1178
; %bb.1165:                             ;   in Loop: Header=BB18_1116 Depth=1
	v_and_b32_e32 v20, 0x7fffffff, v13
	v_mov_b32_e32 v21, v11
	v_cmp_gt_u64_e32 vcc, s[6:7], v[20:21]
	s_and_saveexec_b64 s[0:1], vcc
	s_xor_b64 s[12:13], exec, s[0:1]
	s_cbranch_execz .LBB18_1177
; %bb.1166:                             ;   in Loop: Header=BB18_1116 Depth=1
	v_cmp_ne_u32_e32 vcc, 0, v13
	v_pk_mov_b32 v[2:3], 0, 0
	s_and_saveexec_b64 s[14:15], vcc
	s_cbranch_execz .LBB18_1176
; %bb.1167:                             ;   in Loop: Header=BB18_1116 Depth=1
	v_bfe_u32 v2, v13, 23, 8
	v_sub_u32_e32 v13, 0x79, v2
	v_cmp_gt_u32_e32 vcc, s22, v2
	v_cndmask_b32_e32 v13, 0, v13, vcc
	v_cmp_eq_u32_e32 vcc, 0, v2
	v_cndmask_b32_e32 v13, v13, v28, vcc
	v_add_u32_e32 v3, 0xffffff81, v2
	v_or_b32_e32 v15, 0x800000, v10
	v_add_u32_e32 v2, 20, v13
	v_cndmask_b32_e32 v17, v3, v1, vcc
	v_cndmask_b32_e32 v10, v15, v10, vcc
	v_lshlrev_b64 v[2:3], v2, -1
	v_not_b32_e32 v2, v2
	v_lshrrev_b64 v[22:23], v13, v[10:11]
	v_not_b32_e32 v3, v3
	v_and_b32_e32 v2, v10, v2
	v_add_u32_e32 v15, 19, v13
	v_lshrrev_b32_e32 v10, 23, v22
	v_and_b32_e32 v3, 0, v3
	v_lshlrev_b64 v[20:21], v15, 1
	v_add3_u32 v15, v13, v17, v10
	v_bfe_u32 v10, v22, 20, 1
	v_add_u32_e32 v10, -1, v10
	v_cmp_eq_u64_e32 vcc, v[2:3], v[20:21]
	v_cndmask_b32_e32 v2, 0, v10, vcc
	v_add_u32_e32 v2, v2, v22
	v_and_b32_e32 v2, 0xfffff, v2
	v_add_co_u32_e32 v2, vcc, v2, v22
	v_add_u32_e32 v13, 6, v15
	v_addc_co_u32_e32 v3, vcc, 0, v23, vcc
	v_cmp_ne_u32_e32 vcc, 0, v13
                                        ; implicit-def: $vgpr10
	s_and_saveexec_b64 s[0:1], vcc
	s_xor_b64 s[0:1], exec, s[0:1]
; %bb.1168:                             ;   in Loop: Header=BB18_1116 Depth=1
	v_add_u32_e32 v10, 7, v15
	v_cmp_lt_u64_e32 vcc, s[8:9], v[2:3]
	v_cndmask_b32_e32 v10, v13, v10, vcc
	v_cndmask_b32_e64 v13, 0, 1, vcc
	v_lshrrev_b64 v[2:3], v13, v[2:3]
; %bb.1169:                             ;   in Loop: Header=BB18_1116 Depth=1
	s_andn2_saveexec_b64 s[0:1], s[0:1]
; %bb.1170:                             ;   in Loop: Header=BB18_1116 Depth=1
	v_bfe_u32 v10, v2, 23, 1
; %bb.1171:                             ;   in Loop: Header=BB18_1116 Depth=1
	s_or_b64 exec, exec, s[0:1]
	v_lshrrev_b64 v[2:3], 20, v[2:3]
	v_cmp_gt_i32_e32 vcc, 16, v10
	v_cndmask_b32_e32 v21, 0, v3, vcc
	v_cndmask_b32_e32 v20, 7, v2, vcc
	v_cmp_ne_u32_e32 vcc, 0, v10
	v_cmp_ne_u64_e64 s[0:1], 0, v[20:21]
	s_or_b64 s[0:1], vcc, s[0:1]
                                        ; implicit-def: $vgpr2_vgpr3
	s_and_saveexec_b64 s[26:27], s[0:1]
	s_xor_b64 s[0:1], exec, s[26:27]
; %bb.1172:                             ;   in Loop: Header=BB18_1116 Depth=1
	v_min_i32_e32 v2, 15, v10
	v_lshl_or_b32 v2, v2, 3, v18
	v_and_or_b32 v2, v20, 7, v2
                                        ; implicit-def: $vgpr18
; %bb.1173:                             ;   in Loop: Header=BB18_1116 Depth=1
	s_andn2_saveexec_b64 s[0:1], s[0:1]
; %bb.1174:                             ;   in Loop: Header=BB18_1116 Depth=1
	v_pk_mov_b32 v[2:3], v[18:19], v[18:19] op_sel:[0,1]
; %bb.1175:                             ;   in Loop: Header=BB18_1116 Depth=1
	s_or_b64 exec, exec, s[0:1]
.LBB18_1176:                            ;   in Loop: Header=BB18_1116 Depth=1
	s_or_b64 exec, exec, s[14:15]
.LBB18_1177:                            ;   in Loop: Header=BB18_1116 Depth=1
	s_andn2_saveexec_b64 s[0:1], s[12:13]
	s_or_b64 exec, exec, s[0:1]
                                        ; implicit-def: $vgpr13
.LBB18_1178:                            ;   in Loop: Header=BB18_1116 Depth=1
	s_andn2_saveexec_b64 s[0:1], s[10:11]
; %bb.1179:                             ;   in Loop: Header=BB18_1116 Depth=1
	v_or_b32_sdwa v3, v13, s23 dst_sel:DWORD dst_unused:UNUSED_PAD src0_sel:BYTE_3 src1_sel:DWORD
	v_cmp_eq_u64_e32 vcc, 0, v[10:11]
	v_cndmask_b32_e32 v2, v3, v2, vcc
; %bb.1180:                             ;   in Loop: Header=BB18_1116 Depth=1
	s_or_b64 exec, exec, s[0:1]
	v_cvt_f32_f16_e32 v3, v4
	v_mov_b32_e32 v23, v11
	v_div_scale_f32 v10, s[0:1], s33, s33, v3
	v_rcp_f32_e32 v13, v10
	v_div_scale_f32 v15, vcc, v3, s33, v3
	v_fma_f32 v17, -v10, v13, 1.0
	v_fmac_f32_e32 v13, v17, v13
	v_mul_f32_e32 v17, v15, v13
	v_fma_f32 v18, -v10, v17, v15
	v_fmac_f32_e32 v17, v18, v13
	v_fma_f32 v10, -v10, v17, v15
	v_div_fmas_f32 v10, v10, v13, v17
	v_div_fixup_f32 v3, v10, s33, v3
	v_cvt_f16_f32_e32 v3, v3
	v_cvt_f32_f16_e32 v3, v3
	v_and_b32_sdwa v20, v3, s21 dst_sel:DWORD dst_unused:UNUSED_PAD src0_sel:BYTE_3 src1_sel:DWORD
	v_and_b32_e32 v22, 0x7f800000, v3
	v_and_b32_e32 v10, 0x7fffff, v3
	v_or_b32_e32 v18, 0x7e, v20
	v_cmp_ne_u64_e32 vcc, s[4:5], v[22:23]
	s_and_saveexec_b64 s[0:1], vcc
	s_xor_b64 s[10:11], exec, s[0:1]
	s_cbranch_execz .LBB18_1194
; %bb.1181:                             ;   in Loop: Header=BB18_1116 Depth=1
	v_and_b32_e32 v22, 0x7fffffff, v3
	v_mov_b32_e32 v23, v11
	v_cmp_gt_u64_e32 vcc, s[6:7], v[22:23]
	s_and_saveexec_b64 s[0:1], vcc
	s_xor_b64 s[12:13], exec, s[0:1]
	s_cbranch_execz .LBB18_1193
; %bb.1182:                             ;   in Loop: Header=BB18_1116 Depth=1
	v_cmp_ne_u32_e32 vcc, 0, v3
	v_pk_mov_b32 v[18:19], 0, 0
	s_and_saveexec_b64 s[14:15], vcc
	s_cbranch_execz .LBB18_1192
; %bb.1183:                             ;   in Loop: Header=BB18_1116 Depth=1
	v_bfe_u32 v3, v3, 23, 8
	v_sub_u32_e32 v15, 0x79, v3
	v_cmp_gt_u32_e32 vcc, s22, v3
	v_add_u32_e32 v13, 0xffffff81, v3
	v_cndmask_b32_e32 v15, 0, v15, vcc
	v_cmp_eq_u32_e32 vcc, 0, v3
	v_cndmask_b32_e32 v3, v13, v1, vcc
	v_cndmask_b32_e32 v13, v15, v28, vcc
	v_or_b32_e32 v17, 0x800000, v10
	v_add_u32_e32 v15, 20, v13
	v_cndmask_b32_e32 v10, v17, v10, vcc
	v_lshlrev_b64 v[18:19], v15, -1
	v_not_b32_e32 v15, v19
	v_not_b32_e32 v17, v18
	v_lshrrev_b64 v[24:25], v13, v[10:11]
	v_and_b32_e32 v19, 0, v15
	v_and_b32_e32 v18, v10, v17
	v_add_u32_e32 v15, 19, v13
	v_lshrrev_b32_e32 v10, 23, v24
	v_lshlrev_b64 v[22:23], v15, 1
	v_add3_u32 v13, v13, v3, v10
	v_bfe_u32 v3, v24, 20, 1
	v_add_u32_e32 v3, -1, v3
	v_cmp_eq_u64_e32 vcc, v[18:19], v[22:23]
	v_cndmask_b32_e32 v3, 0, v3, vcc
	v_add_u32_e32 v3, v3, v24
	v_and_b32_e32 v3, 0xfffff, v3
	v_add_co_u32_e32 v18, vcc, v3, v24
	v_add_u32_e32 v10, 6, v13
	v_addc_co_u32_e32 v19, vcc, 0, v25, vcc
	v_cmp_ne_u32_e32 vcc, 0, v10
                                        ; implicit-def: $vgpr3
	s_and_saveexec_b64 s[0:1], vcc
	s_xor_b64 s[0:1], exec, s[0:1]
; %bb.1184:                             ;   in Loop: Header=BB18_1116 Depth=1
	v_add_u32_e32 v3, 7, v13
	v_cmp_lt_u64_e32 vcc, s[8:9], v[18:19]
	v_cndmask_b32_e32 v3, v10, v3, vcc
	v_cndmask_b32_e64 v10, 0, 1, vcc
	v_lshrrev_b64 v[18:19], v10, v[18:19]
; %bb.1185:                             ;   in Loop: Header=BB18_1116 Depth=1
	s_andn2_saveexec_b64 s[0:1], s[0:1]
; %bb.1186:                             ;   in Loop: Header=BB18_1116 Depth=1
	v_bfe_u32 v3, v18, 23, 1
; %bb.1187:                             ;   in Loop: Header=BB18_1116 Depth=1
	s_or_b64 exec, exec, s[0:1]
	v_lshrrev_b64 v[18:19], 20, v[18:19]
	v_cmp_gt_i32_e32 vcc, 16, v3
	v_cndmask_b32_e32 v23, 0, v19, vcc
	v_cndmask_b32_e32 v22, 7, v18, vcc
	v_cmp_ne_u32_e32 vcc, 0, v3
	v_cmp_ne_u64_e64 s[0:1], 0, v[22:23]
	s_or_b64 s[0:1], vcc, s[0:1]
                                        ; implicit-def: $vgpr18_vgpr19
	s_and_saveexec_b64 s[26:27], s[0:1]
	s_xor_b64 s[0:1], exec, s[26:27]
; %bb.1188:                             ;   in Loop: Header=BB18_1116 Depth=1
	v_min_i32_e32 v3, 15, v3
	v_lshl_or_b32 v3, v3, 3, v20
	v_and_or_b32 v18, v22, 7, v3
                                        ; implicit-def: $vgpr20
; %bb.1189:                             ;   in Loop: Header=BB18_1116 Depth=1
	s_andn2_saveexec_b64 s[0:1], s[0:1]
; %bb.1190:                             ;   in Loop: Header=BB18_1116 Depth=1
	v_pk_mov_b32 v[18:19], v[20:21], v[20:21] op_sel:[0,1]
; %bb.1191:                             ;   in Loop: Header=BB18_1116 Depth=1
	s_or_b64 exec, exec, s[0:1]
.LBB18_1192:                            ;   in Loop: Header=BB18_1116 Depth=1
	s_or_b64 exec, exec, s[14:15]
.LBB18_1193:                            ;   in Loop: Header=BB18_1116 Depth=1
	s_andn2_saveexec_b64 s[0:1], s[12:13]
	s_or_b64 exec, exec, s[0:1]
                                        ; implicit-def: $vgpr3
.LBB18_1194:                            ;   in Loop: Header=BB18_1116 Depth=1
	s_andn2_saveexec_b64 s[0:1], s[10:11]
; %bb.1195:                             ;   in Loop: Header=BB18_1116 Depth=1
	v_or_b32_sdwa v3, v3, s23 dst_sel:DWORD dst_unused:UNUSED_PAD src0_sel:BYTE_3 src1_sel:DWORD
	v_cmp_eq_u64_e32 vcc, 0, v[10:11]
	v_cndmask_b32_e32 v18, v3, v18, vcc
; %bb.1196:                             ;   in Loop: Header=BB18_1116 Depth=1
	s_or_b64 exec, exec, s[0:1]
	v_cvt_f32_f16_sdwa v3, v4 dst_sel:DWORD dst_unused:UNUSED_PAD src0_sel:WORD_1
	v_mov_b32_e32 v23, v11
	v_div_scale_f32 v4, s[0:1], s33, s33, v3
	v_rcp_f32_e32 v10, v4
	v_div_scale_f32 v13, vcc, v3, s33, v3
	v_fma_f32 v15, -v4, v10, 1.0
	v_fmac_f32_e32 v10, v15, v10
	v_mul_f32_e32 v15, v13, v10
	v_fma_f32 v17, -v4, v15, v13
	v_fmac_f32_e32 v15, v17, v10
	v_fma_f32 v4, -v4, v15, v13
	v_div_fmas_f32 v4, v4, v10, v15
	v_div_fixup_f32 v3, v4, s33, v3
	v_cvt_f16_f32_e32 v3, v3
	v_cvt_f32_f16_e32 v3, v3
	v_and_b32_sdwa v4, v3, s21 dst_sel:DWORD dst_unused:UNUSED_PAD src0_sel:BYTE_3 src1_sel:DWORD
	v_and_b32_e32 v22, 0x7f800000, v3
	v_and_b32_e32 v10, 0x7fffff, v3
	v_or_b32_e32 v20, 0x7e, v4
	v_cmp_ne_u64_e32 vcc, s[4:5], v[22:23]
	s_and_saveexec_b64 s[0:1], vcc
	s_xor_b64 s[10:11], exec, s[0:1]
	s_cbranch_execz .LBB18_1210
; %bb.1197:                             ;   in Loop: Header=BB18_1116 Depth=1
	v_and_b32_e32 v22, 0x7fffffff, v3
	v_mov_b32_e32 v23, v11
	v_cmp_gt_u64_e32 vcc, s[6:7], v[22:23]
	s_and_saveexec_b64 s[0:1], vcc
	s_xor_b64 s[12:13], exec, s[0:1]
	s_cbranch_execz .LBB18_1209
; %bb.1198:                             ;   in Loop: Header=BB18_1116 Depth=1
	v_cmp_ne_u32_e32 vcc, 0, v3
	v_pk_mov_b32 v[20:21], 0, 0
	s_and_saveexec_b64 s[14:15], vcc
	s_cbranch_execz .LBB18_1208
; %bb.1199:                             ;   in Loop: Header=BB18_1116 Depth=1
	v_bfe_u32 v3, v3, 23, 8
	v_sub_u32_e32 v15, 0x79, v3
	v_cmp_gt_u32_e32 vcc, s22, v3
	v_add_u32_e32 v13, 0xffffff81, v3
	v_cndmask_b32_e32 v15, 0, v15, vcc
	v_cmp_eq_u32_e32 vcc, 0, v3
	v_cndmask_b32_e32 v3, v13, v1, vcc
	v_cndmask_b32_e32 v13, v15, v28, vcc
	v_or_b32_e32 v17, 0x800000, v10
	v_add_u32_e32 v15, 20, v13
	v_cndmask_b32_e32 v10, v17, v10, vcc
	v_lshlrev_b64 v[20:21], v15, -1
	v_not_b32_e32 v15, v21
	v_not_b32_e32 v17, v20
	v_lshrrev_b64 v[24:25], v13, v[10:11]
	v_and_b32_e32 v21, 0, v15
	v_and_b32_e32 v20, v10, v17
	v_add_u32_e32 v15, 19, v13
	v_lshrrev_b32_e32 v10, 23, v24
	v_lshlrev_b64 v[22:23], v15, 1
	v_add3_u32 v13, v13, v3, v10
	v_bfe_u32 v3, v24, 20, 1
	v_add_u32_e32 v3, -1, v3
	v_cmp_eq_u64_e32 vcc, v[20:21], v[22:23]
	v_cndmask_b32_e32 v3, 0, v3, vcc
	v_add_u32_e32 v3, v3, v24
	v_and_b32_e32 v3, 0xfffff, v3
	v_add_co_u32_e32 v20, vcc, v3, v24
	v_add_u32_e32 v10, 6, v13
	v_addc_co_u32_e32 v21, vcc, 0, v25, vcc
	v_cmp_ne_u32_e32 vcc, 0, v10
                                        ; implicit-def: $vgpr3
	s_and_saveexec_b64 s[0:1], vcc
	s_xor_b64 s[0:1], exec, s[0:1]
; %bb.1200:                             ;   in Loop: Header=BB18_1116 Depth=1
	v_add_u32_e32 v3, 7, v13
	v_cmp_lt_u64_e32 vcc, s[8:9], v[20:21]
	v_cndmask_b32_e32 v3, v10, v3, vcc
	v_cndmask_b32_e64 v10, 0, 1, vcc
	v_lshrrev_b64 v[20:21], v10, v[20:21]
; %bb.1201:                             ;   in Loop: Header=BB18_1116 Depth=1
	s_andn2_saveexec_b64 s[0:1], s[0:1]
; %bb.1202:                             ;   in Loop: Header=BB18_1116 Depth=1
	v_bfe_u32 v3, v20, 23, 1
; %bb.1203:                             ;   in Loop: Header=BB18_1116 Depth=1
	s_or_b64 exec, exec, s[0:1]
	v_lshrrev_b64 v[20:21], 20, v[20:21]
	v_cmp_gt_i32_e32 vcc, 16, v3
	v_cndmask_b32_e32 v23, 0, v21, vcc
	v_cndmask_b32_e32 v22, 7, v20, vcc
	v_cmp_ne_u32_e32 vcc, 0, v3
	v_cmp_ne_u64_e64 s[0:1], 0, v[22:23]
	s_or_b64 s[0:1], vcc, s[0:1]
                                        ; implicit-def: $vgpr20_vgpr21
	s_and_saveexec_b64 s[26:27], s[0:1]
	s_xor_b64 s[0:1], exec, s[26:27]
; %bb.1204:                             ;   in Loop: Header=BB18_1116 Depth=1
	v_min_i32_e32 v3, 15, v3
	v_lshl_or_b32 v3, v3, 3, v4
	v_and_or_b32 v20, v22, 7, v3
                                        ; implicit-def: $vgpr4
; %bb.1205:                             ;   in Loop: Header=BB18_1116 Depth=1
	s_andn2_saveexec_b64 s[0:1], s[0:1]
; %bb.1206:                             ;   in Loop: Header=BB18_1116 Depth=1
	v_pk_mov_b32 v[20:21], v[4:5], v[4:5] op_sel:[0,1]
; %bb.1207:                             ;   in Loop: Header=BB18_1116 Depth=1
	s_or_b64 exec, exec, s[0:1]
.LBB18_1208:                            ;   in Loop: Header=BB18_1116 Depth=1
	s_or_b64 exec, exec, s[14:15]
.LBB18_1209:                            ;   in Loop: Header=BB18_1116 Depth=1
	s_andn2_saveexec_b64 s[0:1], s[12:13]
	s_or_b64 exec, exec, s[0:1]
                                        ; implicit-def: $vgpr3
.LBB18_1210:                            ;   in Loop: Header=BB18_1116 Depth=1
	s_andn2_saveexec_b64 s[0:1], s[10:11]
; %bb.1211:                             ;   in Loop: Header=BB18_1116 Depth=1
	v_or_b32_sdwa v3, v3, s23 dst_sel:DWORD dst_unused:UNUSED_PAD src0_sel:BYTE_3 src1_sel:DWORD
	v_cmp_eq_u64_e32 vcc, 0, v[10:11]
	v_cndmask_b32_e32 v20, v3, v20, vcc
; %bb.1212:                             ;   in Loop: Header=BB18_1116 Depth=1
	s_or_b64 exec, exec, s[0:1]
	v_cvt_f32_f16_e32 v3, v5
	v_mov_b32_e32 v25, v11
	v_div_scale_f32 v4, s[0:1], s33, s33, v3
	v_rcp_f32_e32 v10, v4
	v_div_scale_f32 v13, vcc, v3, s33, v3
	v_fma_f32 v15, -v4, v10, 1.0
	v_fmac_f32_e32 v10, v15, v10
	v_mul_f32_e32 v15, v13, v10
	v_fma_f32 v17, -v4, v15, v13
	v_fmac_f32_e32 v15, v17, v10
	v_fma_f32 v4, -v4, v15, v13
	v_div_fmas_f32 v4, v4, v10, v15
	v_div_fixup_f32 v3, v4, s33, v3
	v_cvt_f16_f32_e32 v3, v3
	v_cvt_f32_f16_e32 v3, v3
	v_and_b32_sdwa v4, v3, s21 dst_sel:DWORD dst_unused:UNUSED_PAD src0_sel:BYTE_3 src1_sel:DWORD
	v_and_b32_e32 v24, 0x7f800000, v3
	v_and_b32_e32 v10, 0x7fffff, v3
	v_or_b32_e32 v22, 0x7e, v4
	v_cmp_ne_u64_e32 vcc, s[4:5], v[24:25]
	s_and_saveexec_b64 s[0:1], vcc
	s_xor_b64 s[10:11], exec, s[0:1]
	s_cbranch_execz .LBB18_1226
; %bb.1213:                             ;   in Loop: Header=BB18_1116 Depth=1
	v_and_b32_e32 v24, 0x7fffffff, v3
	v_mov_b32_e32 v25, v11
	v_cmp_gt_u64_e32 vcc, s[6:7], v[24:25]
	s_and_saveexec_b64 s[0:1], vcc
	s_xor_b64 s[12:13], exec, s[0:1]
	s_cbranch_execz .LBB18_1225
; %bb.1214:                             ;   in Loop: Header=BB18_1116 Depth=1
	v_cmp_ne_u32_e32 vcc, 0, v3
	v_pk_mov_b32 v[22:23], 0, 0
	s_and_saveexec_b64 s[14:15], vcc
	s_cbranch_execz .LBB18_1224
; %bb.1215:                             ;   in Loop: Header=BB18_1116 Depth=1
	v_bfe_u32 v3, v3, 23, 8
	v_sub_u32_e32 v15, 0x79, v3
	v_cmp_gt_u32_e32 vcc, s22, v3
	v_add_u32_e32 v13, 0xffffff81, v3
	v_cndmask_b32_e32 v15, 0, v15, vcc
	v_cmp_eq_u32_e32 vcc, 0, v3
	v_cndmask_b32_e32 v3, v13, v1, vcc
	v_cndmask_b32_e32 v13, v15, v28, vcc
	v_or_b32_e32 v17, 0x800000, v10
	v_add_u32_e32 v15, 20, v13
	v_cndmask_b32_e32 v10, v17, v10, vcc
	v_lshlrev_b64 v[22:23], v15, -1
	v_not_b32_e32 v15, v23
	v_not_b32_e32 v17, v22
	v_lshrrev_b64 v[26:27], v13, v[10:11]
	v_and_b32_e32 v23, 0, v15
	v_and_b32_e32 v22, v10, v17
	v_add_u32_e32 v15, 19, v13
	v_lshrrev_b32_e32 v10, 23, v26
	v_lshlrev_b64 v[24:25], v15, 1
	v_add3_u32 v13, v13, v3, v10
	v_bfe_u32 v3, v26, 20, 1
	v_add_u32_e32 v3, -1, v3
	v_cmp_eq_u64_e32 vcc, v[22:23], v[24:25]
	v_cndmask_b32_e32 v3, 0, v3, vcc
	v_add_u32_e32 v3, v3, v26
	v_and_b32_e32 v3, 0xfffff, v3
	v_add_co_u32_e32 v22, vcc, v3, v26
	v_add_u32_e32 v10, 6, v13
	v_addc_co_u32_e32 v23, vcc, 0, v27, vcc
	v_cmp_ne_u32_e32 vcc, 0, v10
                                        ; implicit-def: $vgpr3
	s_and_saveexec_b64 s[0:1], vcc
	s_xor_b64 s[0:1], exec, s[0:1]
; %bb.1216:                             ;   in Loop: Header=BB18_1116 Depth=1
	v_add_u32_e32 v3, 7, v13
	v_cmp_lt_u64_e32 vcc, s[8:9], v[22:23]
	v_cndmask_b32_e32 v3, v10, v3, vcc
	v_cndmask_b32_e64 v10, 0, 1, vcc
	v_lshrrev_b64 v[22:23], v10, v[22:23]
; %bb.1217:                             ;   in Loop: Header=BB18_1116 Depth=1
	s_andn2_saveexec_b64 s[0:1], s[0:1]
; %bb.1218:                             ;   in Loop: Header=BB18_1116 Depth=1
	v_bfe_u32 v3, v22, 23, 1
; %bb.1219:                             ;   in Loop: Header=BB18_1116 Depth=1
	s_or_b64 exec, exec, s[0:1]
	v_lshrrev_b64 v[22:23], 20, v[22:23]
	v_cmp_gt_i32_e32 vcc, 16, v3
	v_cndmask_b32_e32 v25, 0, v23, vcc
	v_cndmask_b32_e32 v24, 7, v22, vcc
	v_cmp_ne_u32_e32 vcc, 0, v3
	v_cmp_ne_u64_e64 s[0:1], 0, v[24:25]
	s_or_b64 s[0:1], vcc, s[0:1]
                                        ; implicit-def: $vgpr22_vgpr23
	s_and_saveexec_b64 s[26:27], s[0:1]
	s_xor_b64 s[0:1], exec, s[26:27]
; %bb.1220:                             ;   in Loop: Header=BB18_1116 Depth=1
	v_min_i32_e32 v3, 15, v3
	v_lshl_or_b32 v3, v3, 3, v4
	v_and_or_b32 v22, v24, 7, v3
                                        ; implicit-def: $vgpr4
; %bb.1221:                             ;   in Loop: Header=BB18_1116 Depth=1
	s_andn2_saveexec_b64 s[0:1], s[0:1]
; %bb.1222:                             ;   in Loop: Header=BB18_1116 Depth=1
	v_pk_mov_b32 v[22:23], v[4:5], v[4:5] op_sel:[0,1]
; %bb.1223:                             ;   in Loop: Header=BB18_1116 Depth=1
	s_or_b64 exec, exec, s[0:1]
.LBB18_1224:                            ;   in Loop: Header=BB18_1116 Depth=1
	s_or_b64 exec, exec, s[14:15]
.LBB18_1225:                            ;   in Loop: Header=BB18_1116 Depth=1
	s_andn2_saveexec_b64 s[0:1], s[12:13]
	s_or_b64 exec, exec, s[0:1]
                                        ; implicit-def: $vgpr3
.LBB18_1226:                            ;   in Loop: Header=BB18_1116 Depth=1
	s_andn2_saveexec_b64 s[0:1], s[10:11]
; %bb.1227:                             ;   in Loop: Header=BB18_1116 Depth=1
	v_or_b32_sdwa v3, v3, s23 dst_sel:DWORD dst_unused:UNUSED_PAD src0_sel:BYTE_3 src1_sel:DWORD
	v_cmp_eq_u64_e32 vcc, 0, v[10:11]
	v_cndmask_b32_e32 v22, v3, v22, vcc
; %bb.1228:                             ;   in Loop: Header=BB18_1116 Depth=1
	s_or_b64 exec, exec, s[0:1]
	v_cvt_f32_f16_sdwa v3, v5 dst_sel:DWORD dst_unused:UNUSED_PAD src0_sel:WORD_1
	v_mov_b32_e32 v27, v11
	v_div_scale_f32 v4, s[0:1], s33, s33, v3
	v_rcp_f32_e32 v5, v4
	v_div_scale_f32 v10, vcc, v3, s33, v3
	v_fma_f32 v13, -v4, v5, 1.0
	v_fmac_f32_e32 v5, v13, v5
	v_mul_f32_e32 v13, v10, v5
	v_fma_f32 v15, -v4, v13, v10
	v_fmac_f32_e32 v13, v15, v5
	v_fma_f32 v4, -v4, v13, v10
	v_div_fmas_f32 v4, v4, v5, v13
	v_div_fixup_f32 v3, v4, s33, v3
	v_cvt_f16_f32_e32 v3, v3
	v_cvt_f32_f16_e32 v3, v3
	v_and_b32_sdwa v4, v3, s21 dst_sel:DWORD dst_unused:UNUSED_PAD src0_sel:BYTE_3 src1_sel:DWORD
	v_and_b32_e32 v26, 0x7f800000, v3
	v_and_b32_e32 v10, 0x7fffff, v3
	v_or_b32_e32 v24, 0x7e, v4
	v_cmp_ne_u64_e32 vcc, s[4:5], v[26:27]
	s_and_saveexec_b64 s[0:1], vcc
	s_xor_b64 s[10:11], exec, s[0:1]
	s_cbranch_execz .LBB18_1242
; %bb.1229:                             ;   in Loop: Header=BB18_1116 Depth=1
	v_and_b32_e32 v26, 0x7fffffff, v3
	v_mov_b32_e32 v27, v11
	v_cmp_gt_u64_e32 vcc, s[6:7], v[26:27]
	s_and_saveexec_b64 s[0:1], vcc
	s_xor_b64 s[12:13], exec, s[0:1]
	s_cbranch_execz .LBB18_1241
; %bb.1230:                             ;   in Loop: Header=BB18_1116 Depth=1
	v_cmp_ne_u32_e32 vcc, 0, v3
	v_pk_mov_b32 v[24:25], 0, 0
	s_and_saveexec_b64 s[14:15], vcc
	s_cbranch_execz .LBB18_1240
; %bb.1231:                             ;   in Loop: Header=BB18_1116 Depth=1
	v_bfe_u32 v3, v3, 23, 8
	v_sub_u32_e32 v13, 0x79, v3
	v_cmp_gt_u32_e32 vcc, s22, v3
	v_add_u32_e32 v5, 0xffffff81, v3
	v_cndmask_b32_e32 v13, 0, v13, vcc
	v_cmp_eq_u32_e32 vcc, 0, v3
	v_cndmask_b32_e32 v3, v5, v1, vcc
	v_cndmask_b32_e32 v5, v13, v28, vcc
	v_or_b32_e32 v15, 0x800000, v10
	v_add_u32_e32 v13, 20, v5
	v_cndmask_b32_e32 v10, v15, v10, vcc
	v_lshlrev_b64 v[24:25], v13, -1
	v_not_b32_e32 v13, v25
	v_not_b32_e32 v15, v24
	v_lshrrev_b64 v[30:31], v5, v[10:11]
	v_and_b32_e32 v25, 0, v13
	v_and_b32_e32 v24, v10, v15
	v_add_u32_e32 v13, 19, v5
	v_lshrrev_b32_e32 v10, 23, v30
	v_lshlrev_b64 v[26:27], v13, 1
	v_add3_u32 v10, v5, v3, v10
	v_bfe_u32 v3, v30, 20, 1
	v_add_u32_e32 v3, -1, v3
	v_cmp_eq_u64_e32 vcc, v[24:25], v[26:27]
	v_cndmask_b32_e32 v3, 0, v3, vcc
	v_add_u32_e32 v3, v3, v30
	v_and_b32_e32 v3, 0xfffff, v3
	v_add_co_u32_e32 v24, vcc, v3, v30
	v_add_u32_e32 v5, 6, v10
	v_addc_co_u32_e32 v25, vcc, 0, v31, vcc
	v_cmp_ne_u32_e32 vcc, 0, v5
                                        ; implicit-def: $vgpr3
	s_and_saveexec_b64 s[0:1], vcc
	s_xor_b64 s[0:1], exec, s[0:1]
; %bb.1232:                             ;   in Loop: Header=BB18_1116 Depth=1
	v_add_u32_e32 v3, 7, v10
	v_cmp_lt_u64_e32 vcc, s[8:9], v[24:25]
	v_cndmask_b32_e32 v3, v5, v3, vcc
	v_cndmask_b32_e64 v5, 0, 1, vcc
	v_lshrrev_b64 v[24:25], v5, v[24:25]
; %bb.1233:                             ;   in Loop: Header=BB18_1116 Depth=1
	s_andn2_saveexec_b64 s[0:1], s[0:1]
; %bb.1234:                             ;   in Loop: Header=BB18_1116 Depth=1
	v_bfe_u32 v3, v24, 23, 1
; %bb.1235:                             ;   in Loop: Header=BB18_1116 Depth=1
	s_or_b64 exec, exec, s[0:1]
	v_lshrrev_b64 v[24:25], 20, v[24:25]
	v_cmp_gt_i32_e32 vcc, 16, v3
	v_cndmask_b32_e32 v27, 0, v25, vcc
	v_cndmask_b32_e32 v26, 7, v24, vcc
	v_cmp_ne_u32_e32 vcc, 0, v3
	v_cmp_ne_u64_e64 s[0:1], 0, v[26:27]
	s_or_b64 s[0:1], vcc, s[0:1]
                                        ; implicit-def: $vgpr24_vgpr25
	s_and_saveexec_b64 s[26:27], s[0:1]
	s_xor_b64 s[0:1], exec, s[26:27]
; %bb.1236:                             ;   in Loop: Header=BB18_1116 Depth=1
	v_min_i32_e32 v3, 15, v3
	v_lshl_or_b32 v3, v3, 3, v4
	v_and_or_b32 v24, v26, 7, v3
                                        ; implicit-def: $vgpr4
; %bb.1237:                             ;   in Loop: Header=BB18_1116 Depth=1
	s_andn2_saveexec_b64 s[0:1], s[0:1]
; %bb.1238:                             ;   in Loop: Header=BB18_1116 Depth=1
	v_pk_mov_b32 v[24:25], v[4:5], v[4:5] op_sel:[0,1]
; %bb.1239:                             ;   in Loop: Header=BB18_1116 Depth=1
	s_or_b64 exec, exec, s[0:1]
.LBB18_1240:                            ;   in Loop: Header=BB18_1116 Depth=1
	s_or_b64 exec, exec, s[14:15]
.LBB18_1241:                            ;   in Loop: Header=BB18_1116 Depth=1
	s_andn2_saveexec_b64 s[0:1], s[12:13]
	s_or_b64 exec, exec, s[0:1]
                                        ; implicit-def: $vgpr3
.LBB18_1242:                            ;   in Loop: Header=BB18_1116 Depth=1
	s_andn2_saveexec_b64 s[0:1], s[10:11]
	s_cbranch_execz .LBB18_1115
; %bb.1243:                             ;   in Loop: Header=BB18_1116 Depth=1
	v_or_b32_sdwa v3, v3, s23 dst_sel:DWORD dst_unused:UNUSED_PAD src0_sel:BYTE_3 src1_sel:DWORD
	v_cmp_eq_u64_e32 vcc, 0, v[10:11]
	v_cndmask_b32_e32 v24, v3, v24, vcc
	s_branch .LBB18_1115
.LBB18_1244:
	s_endpgm
	.section	.rodata,"a",@progbits
	.p2align	6, 0x0
	.amdhsa_kernel _ZN4vllm30reshape_and_cache_flash_kernelIthLNS_18Fp8KVCacheDataTypeE1EEEvPKT_S4_PT0_S6_PKlllllliiiPKfSA_
		.amdhsa_group_segment_fixed_size 0
		.amdhsa_private_segment_fixed_size 0
		.amdhsa_kernarg_size 368
		.amdhsa_user_sgpr_count 6
		.amdhsa_user_sgpr_private_segment_buffer 1
		.amdhsa_user_sgpr_dispatch_ptr 0
		.amdhsa_user_sgpr_queue_ptr 0
		.amdhsa_user_sgpr_kernarg_segment_ptr 1
		.amdhsa_user_sgpr_dispatch_id 0
		.amdhsa_user_sgpr_flat_scratch_init 0
		.amdhsa_user_sgpr_kernarg_preload_length 0
		.amdhsa_user_sgpr_kernarg_preload_offset 0
		.amdhsa_user_sgpr_private_segment_size 0
		.amdhsa_uses_dynamic_stack 0
		.amdhsa_system_sgpr_private_segment_wavefront_offset 0
		.amdhsa_system_sgpr_workgroup_id_x 1
		.amdhsa_system_sgpr_workgroup_id_y 0
		.amdhsa_system_sgpr_workgroup_id_z 0
		.amdhsa_system_sgpr_workgroup_info 0
		.amdhsa_system_vgpr_workitem_id 0
		.amdhsa_next_free_vgpr 100
		.amdhsa_next_free_sgpr 96
		.amdhsa_accum_offset 100
		.amdhsa_reserve_vcc 1
		.amdhsa_reserve_flat_scratch 0
		.amdhsa_float_round_mode_32 0
		.amdhsa_float_round_mode_16_64 0
		.amdhsa_float_denorm_mode_32 3
		.amdhsa_float_denorm_mode_16_64 3
		.amdhsa_dx10_clamp 1
		.amdhsa_ieee_mode 1
		.amdhsa_fp16_overflow 0
		.amdhsa_tg_split 0
		.amdhsa_exception_fp_ieee_invalid_op 0
		.amdhsa_exception_fp_denorm_src 0
		.amdhsa_exception_fp_ieee_div_zero 0
		.amdhsa_exception_fp_ieee_overflow 0
		.amdhsa_exception_fp_ieee_underflow 0
		.amdhsa_exception_fp_ieee_inexact 0
		.amdhsa_exception_int_div_zero 0
	.end_amdhsa_kernel
	.section	.text._ZN4vllm30reshape_and_cache_flash_kernelIthLNS_18Fp8KVCacheDataTypeE1EEEvPKT_S4_PT0_S6_PKlllllliiiPKfSA_,"axG",@progbits,_ZN4vllm30reshape_and_cache_flash_kernelIthLNS_18Fp8KVCacheDataTypeE1EEEvPKT_S4_PT0_S6_PKlllllliiiPKfSA_,comdat
.Lfunc_end18:
	.size	_ZN4vllm30reshape_and_cache_flash_kernelIthLNS_18Fp8KVCacheDataTypeE1EEEvPKT_S4_PT0_S6_PKlllllliiiPKfSA_, .Lfunc_end18-_ZN4vllm30reshape_and_cache_flash_kernelIthLNS_18Fp8KVCacheDataTypeE1EEEvPKT_S4_PT0_S6_PKlllllliiiPKfSA_
                                        ; -- End function
	.section	.AMDGPU.csdata,"",@progbits
; Kernel info:
; codeLenInByte = 54572
; NumSgprs: 100
; NumVgprs: 100
; NumAgprs: 0
; TotalNumVgprs: 100
; ScratchSize: 0
; MemoryBound: 0
; FloatMode: 240
; IeeeMode: 1
; LDSByteSize: 0 bytes/workgroup (compile time only)
; SGPRBlocks: 12
; VGPRBlocks: 12
; NumSGPRsForWavesPerEU: 100
; NumVGPRsForWavesPerEU: 100
; AccumOffset: 100
; Occupancy: 4
; WaveLimiterHint : 0
; COMPUTE_PGM_RSRC2:SCRATCH_EN: 0
; COMPUTE_PGM_RSRC2:USER_SGPR: 6
; COMPUTE_PGM_RSRC2:TRAP_HANDLER: 0
; COMPUTE_PGM_RSRC2:TGID_X_EN: 1
; COMPUTE_PGM_RSRC2:TGID_Y_EN: 0
; COMPUTE_PGM_RSRC2:TGID_Z_EN: 0
; COMPUTE_PGM_RSRC2:TIDIG_COMP_CNT: 0
; COMPUTE_PGM_RSRC3_GFX90A:ACCUM_OFFSET: 24
; COMPUTE_PGM_RSRC3_GFX90A:TG_SPLIT: 0
	.section	.text._ZN4vllm30reshape_and_cache_flash_kernelI14__hip_bfloat16hLNS_18Fp8KVCacheDataTypeE1EEEvPKT_S5_PT0_S7_PKlllllliiiPKfSB_,"axG",@progbits,_ZN4vllm30reshape_and_cache_flash_kernelI14__hip_bfloat16hLNS_18Fp8KVCacheDataTypeE1EEEvPKT_S5_PT0_S7_PKlllllliiiPKfSB_,comdat
	.protected	_ZN4vllm30reshape_and_cache_flash_kernelI14__hip_bfloat16hLNS_18Fp8KVCacheDataTypeE1EEEvPKT_S5_PT0_S7_PKlllllliiiPKfSB_ ; -- Begin function _ZN4vllm30reshape_and_cache_flash_kernelI14__hip_bfloat16hLNS_18Fp8KVCacheDataTypeE1EEEvPKT_S5_PT0_S7_PKlllllliiiPKfSB_
	.globl	_ZN4vllm30reshape_and_cache_flash_kernelI14__hip_bfloat16hLNS_18Fp8KVCacheDataTypeE1EEEvPKT_S5_PT0_S7_PKlllllliiiPKfSB_
	.p2align	8
	.type	_ZN4vllm30reshape_and_cache_flash_kernelI14__hip_bfloat16hLNS_18Fp8KVCacheDataTypeE1EEEvPKT_S5_PT0_S7_PKlllllliiiPKfSB_,@function
_ZN4vllm30reshape_and_cache_flash_kernelI14__hip_bfloat16hLNS_18Fp8KVCacheDataTypeE1EEEvPKT_S5_PT0_S7_PKlllllliiiPKfSB_: ; @_ZN4vllm30reshape_and_cache_flash_kernelI14__hip_bfloat16hLNS_18Fp8KVCacheDataTypeE1EEEvPKT_S5_PT0_S7_PKlllllliiiPKfSB_
; %bb.0:
	s_load_dwordx2 s[0:1], s[4:5], 0x20
	s_mov_b32 s7, 0
	s_lshl_b64 s[2:3], s[6:7], 3
	s_waitcnt lgkmcnt(0)
	s_add_u32 s0, s0, s2
	s_addc_u32 s1, s1, s3
	s_load_dwordx2 s[8:9], s[0:1], 0x0
	s_waitcnt lgkmcnt(0)
	v_cmp_lt_i64_e64 s[0:1], s[8:9], 0
	s_and_b64 vcc, exec, s[0:1]
	s_cbranch_vccnz .LBB19_1244
; %bb.1:
	s_load_dwordx4 s[56:59], s[4:5], 0x50
	s_load_dwordx8 s[60:67], s[4:5], 0x0
	s_waitcnt lgkmcnt(0)
	s_ashr_i32 s59, s58, 31
	s_or_b64 s[0:1], s[8:9], s[58:59]
	s_mov_b32 s0, s7
	s_cmp_lg_u64 s[0:1], 0
	s_cbranch_scc0 .LBB19_646
; %bb.2:
	s_add_u32 s0, s58, s59
	s_mov_b32 s10, s59
	s_mov_b32 s11, s59
	s_addc_u32 s1, s59, s59
	s_xor_b64 s[12:13], s[0:1], s[10:11]
	v_cvt_f32_u32_e32 v1, s12
	v_cvt_f32_u32_e32 v2, s13
	s_sub_u32 s0, 0, s12
	s_subb_u32 s1, 0, s13
	v_madmk_f32 v1, v2, 0x4f800000, v1
	v_rcp_f32_e32 v1, v1
	v_mul_f32_e32 v1, 0x5f7ffffc, v1
	v_mul_f32_e32 v2, 0x2f800000, v1
	v_trunc_f32_e32 v2, v2
	v_madmk_f32 v1, v2, 0xcf800000, v1
	v_cvt_u32_f32_e32 v2, v2
	v_cvt_u32_f32_e32 v1, v1
	v_readfirstlane_b32 s7, v2
	v_readfirstlane_b32 s14, v1
	s_mul_i32 s15, s0, s7
	s_mul_hi_u32 s17, s0, s14
	s_mul_i32 s16, s1, s14
	s_add_i32 s15, s17, s15
	s_add_i32 s15, s15, s16
	s_mul_i32 s18, s0, s14
	s_mul_hi_u32 s16, s14, s15
	s_mul_i32 s17, s14, s15
	s_mul_hi_u32 s14, s14, s18
	s_add_u32 s14, s14, s17
	s_addc_u32 s16, 0, s16
	s_mul_hi_u32 s19, s7, s18
	s_mul_i32 s18, s7, s18
	s_add_u32 s14, s14, s18
	s_mul_hi_u32 s17, s7, s15
	s_addc_u32 s14, s16, s19
	s_addc_u32 s16, s17, 0
	s_mul_i32 s15, s7, s15
	s_add_u32 s14, s14, s15
	s_addc_u32 s15, 0, s16
	v_add_co_u32_e32 v1, vcc, s14, v1
	s_cmp_lg_u64 vcc, 0
	s_addc_u32 s7, s7, s15
	v_readfirstlane_b32 s15, v1
	s_mul_i32 s14, s0, s7
	s_mul_hi_u32 s16, s0, s15
	s_add_i32 s14, s16, s14
	s_mul_i32 s1, s1, s15
	s_add_i32 s14, s14, s1
	s_mul_i32 s0, s0, s15
	s_mul_hi_u32 s16, s7, s0
	s_mul_i32 s17, s7, s0
	s_mul_i32 s19, s15, s14
	s_mul_hi_u32 s0, s15, s0
	s_mul_hi_u32 s18, s15, s14
	s_add_u32 s0, s0, s19
	s_addc_u32 s15, 0, s18
	s_add_u32 s0, s0, s17
	s_mul_hi_u32 s1, s7, s14
	s_addc_u32 s0, s15, s16
	s_addc_u32 s1, s1, 0
	s_mul_i32 s14, s7, s14
	s_add_u32 s0, s0, s14
	s_addc_u32 s1, 0, s1
	v_add_co_u32_e32 v1, vcc, s0, v1
	s_cmp_lg_u64 vcc, 0
	s_addc_u32 s7, s7, s1
	s_ashr_i32 s14, s9, 31
	s_add_u32 s0, s8, s14
	s_mov_b32 s15, s14
	s_addc_u32 s1, s9, s14
	s_xor_b64 s[16:17], s[0:1], s[14:15]
	v_readfirstlane_b32 s18, v1
	s_mul_i32 s1, s16, s7
	s_mul_hi_u32 s19, s16, s18
	s_mul_hi_u32 s0, s16, s7
	s_add_u32 s1, s19, s1
	s_addc_u32 s0, 0, s0
	s_mul_hi_u32 s20, s17, s18
	s_mul_i32 s18, s17, s18
	s_add_u32 s1, s1, s18
	s_mul_hi_u32 s19, s17, s7
	s_addc_u32 s0, s0, s20
	s_addc_u32 s1, s19, 0
	s_mul_i32 s7, s17, s7
	s_add_u32 s7, s0, s7
	s_addc_u32 s18, 0, s1
	s_mul_i32 s0, s12, s18
	s_mul_hi_u32 s1, s12, s7
	s_add_i32 s0, s1, s0
	s_mul_i32 s1, s13, s7
	s_add_i32 s19, s0, s1
	s_mul_i32 s1, s12, s7
	v_mov_b32_e32 v1, s1
	s_sub_i32 s0, s17, s19
	v_sub_co_u32_e32 v1, vcc, s16, v1
	s_cmp_lg_u64 vcc, 0
	s_subb_u32 s16, s0, s13
	v_subrev_co_u32_e64 v2, s[0:1], s12, v1
	s_cmp_lg_u64 s[0:1], 0
	s_subb_u32 s0, s16, 0
	s_cmp_ge_u32 s0, s13
	v_readfirstlane_b32 s16, v2
	s_cselect_b32 s1, -1, 0
	s_cmp_ge_u32 s16, s12
	s_cselect_b32 s16, -1, 0
	s_cmp_eq_u32 s0, s13
	s_cselect_b32 s0, s16, s1
	s_add_u32 s1, s7, 1
	s_addc_u32 s16, s18, 0
	s_add_u32 s20, s7, 2
	s_addc_u32 s21, s18, 0
	s_cmp_lg_u32 s0, 0
	s_cselect_b32 s0, s20, s1
	s_cselect_b32 s1, s21, s16
	s_cmp_lg_u64 vcc, 0
	s_subb_u32 s16, s17, s19
	s_cmp_ge_u32 s16, s13
	v_readfirstlane_b32 s19, v1
	s_cselect_b32 s17, -1, 0
	s_cmp_ge_u32 s19, s12
	s_cselect_b32 s12, -1, 0
	s_cmp_eq_u32 s16, s13
	s_cselect_b32 s12, s12, s17
	s_cmp_lg_u32 s12, 0
	s_cselect_b32 s1, s1, s18
	s_cselect_b32 s0, s0, s7
	s_xor_b64 s[10:11], s[14:15], s[10:11]
	s_xor_b64 s[0:1], s[0:1], s[10:11]
	s_sub_u32 s10, s0, s10
	s_subb_u32 s11, s1, s11
	s_cbranch_execnz .LBB19_4
.LBB19_3:
	v_cvt_f32_u32_e32 v1, s58
	s_sub_i32 s0, 0, s58
	s_mov_b32 s11, 0
	v_rcp_iflag_f32_e32 v1, v1
	v_mul_f32_e32 v1, 0x4f7ffffe, v1
	v_cvt_u32_f32_e32 v1, v1
	v_readfirstlane_b32 s1, v1
	s_mul_i32 s0, s0, s1
	s_mul_hi_u32 s0, s1, s0
	s_add_i32 s1, s1, s0
	s_mul_hi_u32 s0, s8, s1
	s_mul_i32 s2, s0, s58
	s_sub_i32 s2, s8, s2
	s_add_i32 s1, s0, 1
	s_sub_i32 s3, s2, s58
	s_cmp_ge_u32 s2, s58
	s_cselect_b32 s0, s1, s0
	s_cselect_b32 s2, s3, s2
	s_add_i32 s1, s0, 1
	s_cmp_ge_u32 s2, s58
	s_cselect_b32 s10, s1, s0
.LBB19_4:
	s_mul_i32 s7, s10, s59
	s_mul_hi_u32 s14, s10, s58
	s_load_dwordx8 s[48:55], s[4:5], 0x28
	s_load_dwordx2 s[12:13], s[4:5], 0x48
	s_load_dwordx4 s[0:3], s[4:5], 0x60
	s_add_i32 s7, s14, s7
	s_mul_i32 s14, s11, s58
	s_add_i32 s7, s7, s14
	s_mul_i32 s14, s10, s58
	s_sub_u32 s14, s8, s14
	s_subb_u32 s15, s9, s7
	s_waitcnt lgkmcnt(0)
	s_mul_i32 s7, s6, s55
	s_mul_hi_u32 s8, s6, s54
	s_add_i32 s9, s8, s7
	s_mul_i32 s8, s6, s54
	s_lshl_b64 s[36:37], s[8:9], 1
	s_add_u32 s80, s60, s36
	s_addc_u32 s7, s61, s37
                                        ; implicit-def: $vgpr99 : SGPR spill to VGPR lane
	s_mul_hi_u32 s8, s6, s12
	v_writelane_b32 v99, s7, 0
	s_mul_i32 s7, s6, s13
	s_add_i32 s7, s8, s7
	s_mul_i32 s6, s6, s12
	s_lshl_b64 s[88:89], s[6:7], 1
	s_add_u32 s92, s62, s88
	s_mul_i32 s6, s10, s49
	s_mul_hi_u32 s7, s10, s48
	s_addc_u32 s93, s63, s89
	s_add_i32 s6, s7, s6
	s_mul_i32 s7, s11, s48
	s_add_i32 s87, s6, s7
	s_mul_i32 s94, s10, s48
	s_add_u32 s6, s64, s94
	s_mul_i32 s8, s14, s51
	s_mul_hi_u32 s9, s14, s50
	s_addc_u32 s7, s65, s87
	s_add_i32 s8, s9, s8
	s_mul_i32 s15, s15, s50
	s_add_i32 s91, s8, s15
	s_mul_i32 s58, s14, s50
	s_add_u32 s43, s6, s58
	s_addc_u32 s55, s7, s91
	s_add_u32 s6, s66, s94
	s_addc_u32 s7, s67, s87
	s_add_u32 s34, s6, s58
	s_load_dword s6, s[4:5], 0x7c
	s_load_dword s95, s[0:1], 0x0
	;; [unrolled: 1-line block ×3, first 2 shown]
	s_addc_u32 s35, s7, s91
	s_ashr_i32 s5, s57, 31
	s_mov_b32 s4, s57
	s_waitcnt lgkmcnt(0)
	s_and_b32 s86, s6, 0xffff
	s_cmp_lg_u64 s[4:5], s[52:53]
	s_mov_b64 s[0:1], -1
	v_writelane_b32 v99, s34, 1
	v_writelane_b32 v99, s35, 2
	s_cbranch_scc0 .LBB19_625
; %bb.5:
	v_writelane_b32 v99, s36, 13
	v_writelane_b32 v99, s37, 14
	;; [unrolled: 1-line block ×15, first 2 shown]
	v_lshrrev_b32_e32 v17, 5, v0
	v_writelane_b32 v99, s67, 12
	v_cmp_gt_i32_e32 vcc, s56, v17
	s_mov_b64 s[0:1], exec
	v_writelane_b32 v99, s0, 21
	v_writelane_b32 v99, s1, 22
	s_and_b64 s[0:1], s[0:1], vcc
	s_mov_b64 exec, s[0:1]
	s_cbranch_execz .LBB19_624
; %bb.6:
	s_lshr_b32 s84, s86, 5
	s_and_b32 s0, s57, 7
	s_cmp_eq_u32 s0, 0
	s_cselect_b64 s[2:3], -1, 0
	s_ashr_i32 s85, s57, 3
	v_readlane_b32 s4, v99, 17
	v_readlane_b32 s5, v99, 15
	s_add_u32 s4, s5, s4
	v_readlane_b32 s5, v99, 18
	v_readlane_b32 s6, v99, 16
	s_addc_u32 s5, s6, s5
	v_pk_mov_b32 v[2:3], s[4:5], s[4:5] op_sel:[0,1]
	v_mad_u64_u32 v[2:3], s[4:5], s52, v17, v[2:3]
	v_and_b32_e32 v8, 31, v0
	v_mov_b32_e32 v4, v3
	v_mad_u64_u32 v[4:5], s[4:5], s53, v17, v[4:5]
	v_lshlrev_b32_e32 v1, 3, v8
	v_mov_b32_e32 v3, v4
	v_add_co_u32_e32 v4, vcc, v2, v1
	v_readlane_b32 s8, v99, 5
	s_mul_i32 s4, s53, s84
	s_mul_hi_u32 s5, s52, s84
	v_addc_co_u32_e32 v5, vcc, 0, v3, vcc
	v_readlane_b32 s12, v99, 9
	v_readlane_b32 s13, v99, 10
	s_add_i32 s89, s5, s4
	v_readlane_b32 s4, v99, 13
	v_readlane_b32 s9, v99, 6
	v_mov_b32_e32 v1, s13
	v_add_co_u32_e32 v12, vcc, s12, v4
	v_readlane_b32 s5, v99, 14
	s_add_u32 s4, s8, s4
	v_addc_co_u32_e32 v13, vcc, v1, v5, vcc
	v_lshlrev_b32_e32 v6, 4, v8
	s_addc_u32 s5, s9, s5
	v_mov_b32_e32 v7, s5
	v_add_co_u32_e32 v83, vcc, s4, v6
	v_readlane_b32 s10, v99, 7
	v_readlane_b32 s11, v99, 8
	;; [unrolled: 1-line block ×4, first 2 shown]
	v_writelane_b32 v99, s5, 23
	v_addc_co_u32_e32 v84, vcc, 0, v7, vcc
	v_writelane_b32 v99, s4, 24
	v_add_co_u32_e32 v16, vcc, s12, v2
	v_addc_co_u32_e32 v1, vcc, v1, v3, vcc
	v_readlane_b32 s4, v99, 19
	v_mov_b32_e32 v7, s15
	v_add_co_u32_e32 v18, vcc, s14, v4
	v_readlane_b32 s5, v99, 20
	s_add_u32 s4, s10, s4
	v_addc_co_u32_e32 v19, vcc, v7, v5, vcc
	s_addc_u32 s5, s11, s5
	v_writelane_b32 v99, s5, 25
	v_mov_b32_e32 v4, s5
	v_add_co_u32_e32 v85, vcc, s4, v6
	v_writelane_b32 v99, s4, 26
	v_addc_co_u32_e32 v86, vcc, 0, v4, vcc
	v_add_co_u32_e32 v20, vcc, s14, v2
	v_readlane_b32 s4, v99, 0
	v_cmp_gt_i32_e64 s[0:1], s85, v8
	v_mov_b32_e32 v11, 0
	v_not_b32_e32 v21, v8
	v_or_b32_e32 v82, 32, v8
	s_mov_b32 s81, s95
	s_mov_b32 s88, s95
	s_mov_b32 s90, s95
	s_mov_b32 s48, s33
	s_mov_b32 s49, s33
	s_mov_b32 s87, s33
	s_mul_i32 s54, s52, s84
	v_mul_lo_u32 v14, s57, v17
	s_mul_i32 s20, s57, s84
	v_addc_co_u32_e32 v9, vcc, v7, v3, vcc
	s_mov_b64 s[50:51], 0
	v_mov_b32_e32 v87, s4
	s_xor_b64 s[60:61], s[2:3], -1
	s_movk_i32 s58, 0x80
	s_mov_b64 s[62:63], 0x7f800000
	s_mov_b64 s[64:65], 0x43e00001
	s_movk_i32 s59, 0x7a
	s_mov_b64 s[66:67], 0xffffff
	s_movk_i32 s40, 0x7f
	s_mov_b32 s41, 0xff00
	s_mov_b32 s42, 0x4020c0c
	s_movk_i32 s21, 0x5f
	s_mov_b64 s[68:69], 0x43e00000
	v_mov_b32_e32 v88, 0xffffff82
	v_mov_b32_e32 v89, 0x78
	s_mov_b32 s91, s92
	s_mov_b32 s94, s93
	s_branch .LBB19_9
.LBB19_7:                               ;   in Loop: Header=BB19_9 Depth=1
	s_or_b64 exec, exec, s[6:7]
.LBB19_8:                               ;   in Loop: Header=BB19_9 Depth=1
	s_or_b64 exec, exec, s[4:5]
	v_mov_b32_e32 v2, s89
	v_add_co_u32_e32 v12, vcc, s54, v12
	v_addc_co_u32_e32 v13, vcc, v13, v2, vcc
	v_add_co_u32_e32 v16, vcc, s54, v16
	v_addc_co_u32_e32 v1, vcc, v1, v2, vcc
	v_add_co_u32_e32 v18, vcc, s54, v18
	v_add_u32_e32 v17, s84, v17
	v_addc_co_u32_e32 v19, vcc, v19, v2, vcc
	v_cmp_le_i32_e32 vcc, s56, v17
	s_or_b64 s[50:51], vcc, s[50:51]
	v_add_co_u32_e32 v20, vcc, s54, v20
	v_add_u32_e32 v14, s20, v14
	v_addc_co_u32_e32 v9, vcc, v9, v2, vcc
	s_andn2_b64 exec, exec, s[50:51]
	s_cbranch_execz .LBB19_624
.LBB19_9:                               ; =>This Loop Header: Depth=1
                                        ;     Child Loop BB19_31 Depth 2
                                        ;     Child Loop BB19_162 Depth 2
	;; [unrolled: 1-line block ×8, first 2 shown]
	v_mul_lo_u32 v2, v17, s57
	v_ashrrev_i32_e32 v3, 31, v2
	v_lshlrev_b64 v[26:27], 1, v[2:3]
	v_add_co_u32_e32 v50, vcc, s80, v26
	v_mad_u64_u32 v[24:25], s[2:3], v17, s52, 0
	v_addc_co_u32_e32 v51, vcc, v87, v27, vcc
	v_mov_b32_e32 v2, v25
	v_and_b32_e32 v10, 15, v50
	v_ashrrev_i32_e32 v15, 31, v14
	v_mad_u64_u32 v[2:3], s[2:3], v17, s53, v[2:3]
	v_cmp_ne_u64_e32 vcc, 0, v[10:11]
	v_lshlrev_b64 v[22:23], 1, v[14:15]
	v_mov_b32_e32 v15, v2
	s_or_b64 s[2:3], s[60:61], vcc
	s_and_saveexec_b64 s[4:5], s[2:3]
	s_xor_b64 s[70:71], exec, s[4:5]
	s_cbranch_execz .LBB19_184
; %bb.10:                               ;   in Loop: Header=BB19_9 Depth=1
	v_mov_b32_e32 v2, s55
	v_add_co_u32_e32 v52, vcc, s43, v24
	v_addc_co_u32_e32 v53, vcc, v2, v15, vcc
	v_sub_u32_e32 v2, 0, v50
	v_bfe_u32 v2, v2, 1, 3
	v_min_i32_e32 v28, s57, v2
	v_cmp_gt_i32_e32 vcc, v28, v8
	s_and_saveexec_b64 s[4:5], vcc
	s_cbranch_execz .LBB19_28
; %bb.11:                               ;   in Loop: Header=BB19_9 Depth=1
	v_lshlrev_b32_e32 v2, 1, v8
	v_add_co_u32_e32 v2, vcc, v50, v2
	v_addc_co_u32_e32 v3, vcc, 0, v51, vcc
	global_load_ushort v2, v[2:3], off
	v_mov_b32_e32 v7, v11
	s_waitcnt vmcnt(0)
	v_lshlrev_b32_e32 v2, 16, v2
	v_div_scale_f32 v3, s[2:3], s95, s95, v2
	v_rcp_f32_e32 v4, v3
	v_div_scale_f32 v5, vcc, v2, s95, v2
	v_fma_f32 v6, -v3, v4, 1.0
	v_fmac_f32_e32 v4, v6, v4
	v_mul_f32_e32 v6, v5, v4
	v_fma_f32 v10, -v3, v6, v5
	v_fmac_f32_e32 v6, v10, v4
	v_fma_f32 v3, -v3, v6, v5
	v_div_fmas_f32 v3, v3, v4, v6
	v_div_fixup_f32 v2, v3, s95, v2
	v_and_b32_sdwa v4, v2, s58 dst_sel:DWORD dst_unused:UNUSED_PAD src0_sel:BYTE_3 src1_sel:DWORD
	v_and_b32_e32 v6, 0x7f800000, v2
	v_and_b32_e32 v10, 0x7fffff, v2
	v_or_b32_e32 v3, 0x7e, v4
	v_cmp_ne_u64_e32 vcc, s[62:63], v[6:7]
	s_and_saveexec_b64 s[2:3], vcc
	s_xor_b64 s[6:7], exec, s[2:3]
	s_cbranch_execz .LBB19_25
; %bb.12:                               ;   in Loop: Header=BB19_9 Depth=1
	v_and_b32_e32 v6, 0x7fffffff, v2
	v_mov_b32_e32 v7, v11
	v_cmp_gt_u64_e32 vcc, s[64:65], v[6:7]
	s_and_saveexec_b64 s[2:3], vcc
	s_xor_b64 s[8:9], exec, s[2:3]
	s_cbranch_execz .LBB19_24
; %bb.13:                               ;   in Loop: Header=BB19_9 Depth=1
	v_cmp_ne_u32_e32 vcc, 0, v2
	v_mov_b32_e32 v3, 0
	s_and_saveexec_b64 s[10:11], vcc
	s_cbranch_execz .LBB19_23
; %bb.14:                               ;   in Loop: Header=BB19_9 Depth=1
	v_bfe_u32 v2, v2, 23, 8
	v_sub_u32_e32 v5, 0x79, v2
	v_cmp_gt_u32_e32 vcc, s59, v2
	v_cndmask_b32_e32 v5, 0, v5, vcc
	v_cmp_eq_u32_e32 vcc, 0, v2
	v_or_b32_e32 v6, 0x800000, v10
	v_cndmask_b32_e32 v5, v5, v89, vcc
	v_add_u32_e32 v3, 0xffffff81, v2
	v_cndmask_b32_e32 v10, v6, v10, vcc
	v_add_u32_e32 v2, 20, v5
	v_cndmask_b32_e32 v7, v3, v88, vcc
	v_lshlrev_b64 v[2:3], v2, -1
	v_add_u32_e32 v6, 19, v5
	v_lshrrev_b64 v[32:33], v5, v[10:11]
	v_not_b32_e32 v3, v3
	v_not_b32_e32 v2, v2
	v_lshlrev_b64 v[30:31], v6, 1
	v_lshrrev_b32_e32 v6, 23, v32
	v_and_b32_e32 v3, 0, v3
	v_and_b32_e32 v2, v10, v2
	v_add3_u32 v7, v5, v7, v6
	v_bfe_u32 v5, v32, 20, 1
	v_add_u32_e32 v5, -1, v5
	v_cmp_eq_u64_e32 vcc, v[2:3], v[30:31]
	v_cndmask_b32_e32 v2, 0, v5, vcc
	v_add_u32_e32 v2, v2, v32
	v_and_b32_e32 v2, 0xfffff, v2
	v_add_co_u32_e32 v2, vcc, v2, v32
	v_add_u32_e32 v6, 6, v7
	v_addc_co_u32_e32 v3, vcc, 0, v33, vcc
	v_cmp_ne_u32_e32 vcc, 0, v6
                                        ; implicit-def: $vgpr5
	s_and_saveexec_b64 s[2:3], vcc
	s_xor_b64 s[2:3], exec, s[2:3]
; %bb.15:                               ;   in Loop: Header=BB19_9 Depth=1
	v_add_u32_e32 v5, 7, v7
	v_cmp_lt_u64_e32 vcc, s[66:67], v[2:3]
	v_cndmask_b32_e32 v5, v6, v5, vcc
	v_cndmask_b32_e64 v6, 0, 1, vcc
	v_lshrrev_b64 v[2:3], v6, v[2:3]
; %bb.16:                               ;   in Loop: Header=BB19_9 Depth=1
	s_andn2_saveexec_b64 s[2:3], s[2:3]
; %bb.17:                               ;   in Loop: Header=BB19_9 Depth=1
	v_bfe_u32 v5, v2, 23, 1
; %bb.18:                               ;   in Loop: Header=BB19_9 Depth=1
	s_or_b64 exec, exec, s[2:3]
	v_lshrrev_b64 v[2:3], 20, v[2:3]
	v_cmp_gt_i32_e32 vcc, 16, v5
	v_cndmask_b32_e32 v3, 0, v3, vcc
	v_cndmask_b32_e32 v2, 7, v2, vcc
	v_cmp_ne_u32_e32 vcc, 0, v5
	v_cmp_ne_u64_e64 s[2:3], 0, v[2:3]
	s_or_b64 s[2:3], vcc, s[2:3]
                                        ; implicit-def: $vgpr3
	s_and_saveexec_b64 s[12:13], s[2:3]
	s_xor_b64 s[2:3], exec, s[12:13]
; %bb.19:                               ;   in Loop: Header=BB19_9 Depth=1
	v_min_i32_e32 v3, 15, v5
	v_lshl_or_b32 v3, v3, 3, v4
	v_and_or_b32 v3, v2, 7, v3
                                        ; implicit-def: $vgpr4
; %bb.20:                               ;   in Loop: Header=BB19_9 Depth=1
	s_andn2_saveexec_b64 s[2:3], s[2:3]
; %bb.21:                               ;   in Loop: Header=BB19_9 Depth=1
	v_mov_b32_e32 v3, v4
; %bb.22:                               ;   in Loop: Header=BB19_9 Depth=1
	s_or_b64 exec, exec, s[2:3]
.LBB19_23:                              ;   in Loop: Header=BB19_9 Depth=1
	s_or_b64 exec, exec, s[10:11]
.LBB19_24:                              ;   in Loop: Header=BB19_9 Depth=1
	s_andn2_saveexec_b64 s[2:3], s[8:9]
	s_or_b64 exec, exec, s[2:3]
                                        ; implicit-def: $vgpr2
.LBB19_25:                              ;   in Loop: Header=BB19_9 Depth=1
	s_andn2_saveexec_b64 s[2:3], s[6:7]
; %bb.26:                               ;   in Loop: Header=BB19_9 Depth=1
	v_or_b32_sdwa v2, v2, s40 dst_sel:DWORD dst_unused:UNUSED_PAD src0_sel:BYTE_3 src1_sel:DWORD
	v_cmp_eq_u64_e32 vcc, 0, v[10:11]
	v_cndmask_b32_e32 v3, v2, v3, vcc
; %bb.27:                               ;   in Loop: Header=BB19_9 Depth=1
	s_or_b64 exec, exec, s[2:3]
	v_add_co_u32_e32 v4, vcc, v52, v8
	v_addc_co_u32_e32 v5, vcc, 0, v53, vcc
	global_store_byte v[4:5], v3, off
.LBB19_28:                              ;   in Loop: Header=BB19_9 Depth=1
	s_or_b64 exec, exec, s[4:5]
	v_sub_u32_e32 v25, s57, v28
	v_ashrrev_i32_e32 v2, 31, v25
	v_lshrrev_b32_e32 v2, 29, v2
	v_add_u32_e32 v2, v25, v2
	v_ashrrev_i32_e32 v29, 31, v28
	v_ashrrev_i32_e32 v54, 3, v2
	v_cmp_gt_i32_e32 vcc, v54, v8
	v_lshlrev_b64 v[30:31], 1, v[28:29]
	s_and_saveexec_b64 s[4:5], vcc
	s_cbranch_execz .LBB19_159
; %bb.29:                               ;   in Loop: Header=BB19_9 Depth=1
	v_add_co_u32_e32 v6, vcc, v12, v28
	v_addc_co_u32_e32 v7, vcc, v13, v29, vcc
	v_add_co_u32_e32 v2, vcc, v30, v22
	v_addc_co_u32_e32 v3, vcc, v31, v23, vcc
	v_add_co_u32_e32 v32, vcc, v83, v2
	v_addc_co_u32_e32 v33, vcc, v84, v3, vcc
	s_mov_b64 s[6:7], 0
	v_mov_b32_e32 v55, v8
	s_branch .LBB19_31
.LBB19_30:                              ;   in Loop: Header=BB19_31 Depth=2
	s_or_b64 exec, exec, s[2:3]
	v_lshlrev_b32_e32 v4, 16, v44
	v_lshlrev_b32_e32 v3, 24, v46
	v_and_b32_e32 v4, 0xff0000, v4
	v_or_b32_e32 v3, v3, v4
	v_lshlrev_b32_e32 v4, 8, v42
	v_and_b32_e32 v4, 0xff00, v4
	v_and_b32_e32 v5, 0xff, v40
	v_or3_b32 v3, v3, v4, v5
	v_lshlrev_b32_e32 v4, 16, v38
	v_lshlrev_b32_e32 v5, 8, v36
	v_perm_b32 v2, v2, v4, s42
	v_and_or_b32 v2, v5, s41, v2
	v_or_b32_sdwa v2, v2, v34 dst_sel:DWORD dst_unused:UNUSED_PAD src0_sel:DWORD src1_sel:BYTE_0
	global_store_dwordx2 v[6:7], v[2:3], off
	v_add_co_u32_e32 v6, vcc, 0x100, v6
	v_add_u32_e32 v55, 32, v55
	v_addc_co_u32_e32 v7, vcc, 0, v7, vcc
	v_add_co_u32_e32 v32, vcc, 0x200, v32
	v_cmp_ge_i32_e64 s[2:3], v55, v54
	s_or_b64 s[6:7], s[2:3], s[6:7]
	v_addc_co_u32_e32 v33, vcc, 0, v33, vcc
	s_andn2_b64 exec, exec, s[6:7]
	s_cbranch_execz .LBB19_159
.LBB19_31:                              ;   Parent Loop BB19_9 Depth=1
                                        ; =>  This Inner Loop Header: Depth=2
	global_load_dwordx4 v[2:5], v[32:33], off
	v_mov_b32_e32 v39, v11
	s_waitcnt vmcnt(0)
	v_lshlrev_b32_e32 v10, 16, v2
	v_div_scale_f32 v34, s[2:3], s95, s95, v10
	v_rcp_f32_e32 v35, v34
	v_div_scale_f32 v36, vcc, v10, s95, v10
	v_fma_f32 v37, -v34, v35, 1.0
	v_fmac_f32_e32 v35, v37, v35
	v_mul_f32_e32 v37, v36, v35
	v_fma_f32 v38, -v34, v37, v36
	v_fmac_f32_e32 v37, v38, v35
	v_fma_f32 v34, -v34, v37, v36
	v_div_fmas_f32 v34, v34, v35, v37
	v_div_fixup_f32 v37, v34, s95, v10
	v_and_b32_sdwa v36, v37, s58 dst_sel:DWORD dst_unused:UNUSED_PAD src0_sel:BYTE_3 src1_sel:DWORD
	v_and_b32_e32 v38, 0x7f800000, v37
	v_and_b32_e32 v10, 0x7fffff, v37
	v_or_b32_e32 v34, 0x7e, v36
	v_cmp_ne_u64_e32 vcc, s[62:63], v[38:39]
	s_and_saveexec_b64 s[2:3], vcc
	s_xor_b64 s[8:9], exec, s[2:3]
	s_cbranch_execz .LBB19_45
; %bb.32:                               ;   in Loop: Header=BB19_31 Depth=2
	v_and_b32_e32 v38, 0x7fffffff, v37
	v_mov_b32_e32 v39, v11
	v_cmp_gt_u64_e32 vcc, s[64:65], v[38:39]
	s_and_saveexec_b64 s[2:3], vcc
	s_xor_b64 s[10:11], exec, s[2:3]
	s_cbranch_execz .LBB19_44
; %bb.33:                               ;   in Loop: Header=BB19_31 Depth=2
	v_cmp_ne_u32_e32 vcc, 0, v37
	v_pk_mov_b32 v[34:35], 0, 0
	s_and_saveexec_b64 s[12:13], vcc
	s_cbranch_execz .LBB19_43
; %bb.34:                               ;   in Loop: Header=BB19_31 Depth=2
	v_bfe_u32 v34, v37, 23, 8
	v_sub_u32_e32 v37, 0x79, v34
	v_cmp_gt_u32_e32 vcc, s59, v34
	v_cndmask_b32_e32 v37, 0, v37, vcc
	v_cmp_eq_u32_e32 vcc, 0, v34
	v_cndmask_b32_e32 v37, v37, v89, vcc
	v_add_u32_e32 v35, 0xffffff81, v34
	v_or_b32_e32 v38, 0x800000, v10
	v_add_u32_e32 v34, 20, v37
	v_cndmask_b32_e32 v39, v35, v88, vcc
	v_cndmask_b32_e32 v10, v38, v10, vcc
	v_lshlrev_b64 v[34:35], v34, -1
	v_not_b32_e32 v34, v34
	v_lshrrev_b64 v[42:43], v37, v[10:11]
	v_not_b32_e32 v35, v35
	v_and_b32_e32 v34, v10, v34
	v_add_u32_e32 v38, 19, v37
	v_lshrrev_b32_e32 v10, 23, v42
	v_and_b32_e32 v35, 0, v35
	v_lshlrev_b64 v[40:41], v38, 1
	v_add3_u32 v38, v37, v39, v10
	v_bfe_u32 v10, v42, 20, 1
	v_add_u32_e32 v10, -1, v10
	v_cmp_eq_u64_e32 vcc, v[34:35], v[40:41]
	v_cndmask_b32_e32 v10, 0, v10, vcc
	v_add_u32_e32 v10, v10, v42
	v_and_b32_e32 v10, 0xfffff, v10
	v_add_co_u32_e32 v34, vcc, v10, v42
	v_add_u32_e32 v37, 6, v38
	v_addc_co_u32_e32 v35, vcc, 0, v43, vcc
	v_cmp_ne_u32_e32 vcc, 0, v37
                                        ; implicit-def: $vgpr10
	s_and_saveexec_b64 s[2:3], vcc
	s_xor_b64 s[2:3], exec, s[2:3]
; %bb.35:                               ;   in Loop: Header=BB19_31 Depth=2
	v_add_u32_e32 v10, 7, v38
	v_cmp_lt_u64_e32 vcc, s[66:67], v[34:35]
	v_cndmask_b32_e32 v10, v37, v10, vcc
	v_cndmask_b32_e64 v37, 0, 1, vcc
	v_lshrrev_b64 v[34:35], v37, v[34:35]
; %bb.36:                               ;   in Loop: Header=BB19_31 Depth=2
	s_andn2_saveexec_b64 s[2:3], s[2:3]
; %bb.37:                               ;   in Loop: Header=BB19_31 Depth=2
	v_bfe_u32 v10, v34, 23, 1
; %bb.38:                               ;   in Loop: Header=BB19_31 Depth=2
	s_or_b64 exec, exec, s[2:3]
	v_lshrrev_b64 v[34:35], 20, v[34:35]
	v_cmp_gt_i32_e32 vcc, 16, v10
	v_cndmask_b32_e32 v39, 0, v35, vcc
	v_cndmask_b32_e32 v38, 7, v34, vcc
	v_cmp_ne_u32_e32 vcc, 0, v10
	v_cmp_ne_u64_e64 s[2:3], 0, v[38:39]
	s_or_b64 s[2:3], vcc, s[2:3]
                                        ; implicit-def: $vgpr34_vgpr35
	s_and_saveexec_b64 s[14:15], s[2:3]
	s_xor_b64 s[2:3], exec, s[14:15]
; %bb.39:                               ;   in Loop: Header=BB19_31 Depth=2
	v_min_i32_e32 v10, 15, v10
	v_lshl_or_b32 v10, v10, 3, v36
	v_and_or_b32 v34, v38, 7, v10
                                        ; implicit-def: $vgpr36
; %bb.40:                               ;   in Loop: Header=BB19_31 Depth=2
	s_andn2_saveexec_b64 s[2:3], s[2:3]
; %bb.41:                               ;   in Loop: Header=BB19_31 Depth=2
	v_pk_mov_b32 v[34:35], v[36:37], v[36:37] op_sel:[0,1]
; %bb.42:                               ;   in Loop: Header=BB19_31 Depth=2
	s_or_b64 exec, exec, s[2:3]
.LBB19_43:                              ;   in Loop: Header=BB19_31 Depth=2
	s_or_b64 exec, exec, s[12:13]
.LBB19_44:                              ;   in Loop: Header=BB19_31 Depth=2
	s_andn2_saveexec_b64 s[2:3], s[10:11]
	s_or_b64 exec, exec, s[2:3]
                                        ; implicit-def: $vgpr37
.LBB19_45:                              ;   in Loop: Header=BB19_31 Depth=2
	s_andn2_saveexec_b64 s[2:3], s[8:9]
; %bb.46:                               ;   in Loop: Header=BB19_31 Depth=2
	v_or_b32_sdwa v35, v37, s40 dst_sel:DWORD dst_unused:UNUSED_PAD src0_sel:BYTE_3 src1_sel:DWORD
	v_cmp_eq_u64_e32 vcc, 0, v[10:11]
	v_cndmask_b32_e32 v34, v35, v34, vcc
; %bb.47:                               ;   in Loop: Header=BB19_31 Depth=2
	s_or_b64 exec, exec, s[2:3]
	v_and_b32_e32 v2, 0xffff0000, v2
	v_div_scale_f32 v10, s[2:3], s95, s95, v2
	v_rcp_f32_e32 v35, v10
	v_div_scale_f32 v36, vcc, v2, s95, v2
	v_mov_b32_e32 v39, v11
	v_fma_f32 v37, -v10, v35, 1.0
	v_fmac_f32_e32 v35, v37, v35
	v_mul_f32_e32 v37, v36, v35
	v_fma_f32 v38, -v10, v37, v36
	v_fmac_f32_e32 v37, v38, v35
	v_fma_f32 v10, -v10, v37, v36
	v_div_fmas_f32 v10, v10, v35, v37
	v_div_fixup_f32 v35, v10, s95, v2
	v_and_b32_sdwa v2, v35, s58 dst_sel:DWORD dst_unused:UNUSED_PAD src0_sel:BYTE_3 src1_sel:DWORD
	v_and_b32_e32 v38, 0x7f800000, v35
	v_and_b32_e32 v10, 0x7fffff, v35
	v_or_b32_e32 v36, 0x7e, v2
	v_cmp_ne_u64_e32 vcc, s[62:63], v[38:39]
	s_and_saveexec_b64 s[2:3], vcc
	s_xor_b64 s[8:9], exec, s[2:3]
	s_cbranch_execz .LBB19_61
; %bb.48:                               ;   in Loop: Header=BB19_31 Depth=2
	v_and_b32_e32 v38, 0x7fffffff, v35
	v_mov_b32_e32 v39, v11
	v_cmp_gt_u64_e32 vcc, s[64:65], v[38:39]
	s_and_saveexec_b64 s[2:3], vcc
	s_xor_b64 s[10:11], exec, s[2:3]
	s_cbranch_execz .LBB19_60
; %bb.49:                               ;   in Loop: Header=BB19_31 Depth=2
	v_cmp_ne_u32_e32 vcc, 0, v35
	v_pk_mov_b32 v[36:37], 0, 0
	s_and_saveexec_b64 s[12:13], vcc
	s_cbranch_execz .LBB19_59
; %bb.50:                               ;   in Loop: Header=BB19_31 Depth=2
	v_bfe_u32 v35, v35, 23, 8
	v_sub_u32_e32 v37, 0x79, v35
	v_cmp_gt_u32_e32 vcc, s59, v35
	v_cndmask_b32_e32 v37, 0, v37, vcc
	v_cmp_eq_u32_e32 vcc, 0, v35
	v_add_u32_e32 v36, 0xffffff81, v35
	v_cndmask_b32_e32 v39, v37, v89, vcc
	v_or_b32_e32 v38, 0x800000, v10
	v_cndmask_b32_e32 v35, v36, v88, vcc
	v_add_u32_e32 v36, 20, v39
	v_cndmask_b32_e32 v10, v38, v10, vcc
	v_lshlrev_b64 v[36:37], v36, -1
	v_not_b32_e32 v36, v36
	v_lshrrev_b64 v[42:43], v39, v[10:11]
	v_not_b32_e32 v37, v37
	v_and_b32_e32 v36, v10, v36
	v_add_u32_e32 v38, 19, v39
	v_lshrrev_b32_e32 v10, 23, v42
	v_and_b32_e32 v37, 0, v37
	v_lshlrev_b64 v[40:41], v38, 1
	v_add3_u32 v38, v39, v35, v10
	v_bfe_u32 v10, v42, 20, 1
	v_add_u32_e32 v10, -1, v10
	v_cmp_eq_u64_e32 vcc, v[36:37], v[40:41]
	v_cndmask_b32_e32 v10, 0, v10, vcc
	v_add_u32_e32 v10, v10, v42
	v_and_b32_e32 v10, 0xfffff, v10
	v_add_co_u32_e32 v36, vcc, v10, v42
	v_add_u32_e32 v35, 6, v38
	v_addc_co_u32_e32 v37, vcc, 0, v43, vcc
	v_cmp_ne_u32_e32 vcc, 0, v35
                                        ; implicit-def: $vgpr10
	s_and_saveexec_b64 s[2:3], vcc
	s_xor_b64 s[2:3], exec, s[2:3]
; %bb.51:                               ;   in Loop: Header=BB19_31 Depth=2
	v_add_u32_e32 v10, 7, v38
	v_cmp_lt_u64_e32 vcc, s[66:67], v[36:37]
	v_cndmask_b32_e32 v10, v35, v10, vcc
	v_cndmask_b32_e64 v35, 0, 1, vcc
	v_lshrrev_b64 v[36:37], v35, v[36:37]
; %bb.52:                               ;   in Loop: Header=BB19_31 Depth=2
	s_andn2_saveexec_b64 s[2:3], s[2:3]
; %bb.53:                               ;   in Loop: Header=BB19_31 Depth=2
	v_bfe_u32 v10, v36, 23, 1
; %bb.54:                               ;   in Loop: Header=BB19_31 Depth=2
	s_or_b64 exec, exec, s[2:3]
	v_lshrrev_b64 v[36:37], 20, v[36:37]
	v_cmp_gt_i32_e32 vcc, 16, v10
	v_cndmask_b32_e32 v39, 0, v37, vcc
	v_cndmask_b32_e32 v38, 7, v36, vcc
	v_cmp_ne_u32_e32 vcc, 0, v10
	v_cmp_ne_u64_e64 s[2:3], 0, v[38:39]
	s_or_b64 s[2:3], vcc, s[2:3]
                                        ; implicit-def: $vgpr36_vgpr37
	s_and_saveexec_b64 s[14:15], s[2:3]
	s_xor_b64 s[2:3], exec, s[14:15]
; %bb.55:                               ;   in Loop: Header=BB19_31 Depth=2
	v_min_i32_e32 v10, 15, v10
	v_lshl_or_b32 v2, v10, 3, v2
	v_and_or_b32 v36, v38, 7, v2
                                        ; implicit-def: $vgpr2
; %bb.56:                               ;   in Loop: Header=BB19_31 Depth=2
	s_andn2_saveexec_b64 s[2:3], s[2:3]
; %bb.57:                               ;   in Loop: Header=BB19_31 Depth=2
	v_pk_mov_b32 v[36:37], v[2:3], v[2:3] op_sel:[0,1]
; %bb.58:                               ;   in Loop: Header=BB19_31 Depth=2
	s_or_b64 exec, exec, s[2:3]
.LBB19_59:                              ;   in Loop: Header=BB19_31 Depth=2
	s_or_b64 exec, exec, s[12:13]
.LBB19_60:                              ;   in Loop: Header=BB19_31 Depth=2
	s_andn2_saveexec_b64 s[2:3], s[10:11]
	s_or_b64 exec, exec, s[2:3]
                                        ; implicit-def: $vgpr35
.LBB19_61:                              ;   in Loop: Header=BB19_31 Depth=2
	s_andn2_saveexec_b64 s[2:3], s[8:9]
; %bb.62:                               ;   in Loop: Header=BB19_31 Depth=2
	v_or_b32_sdwa v2, v35, s40 dst_sel:DWORD dst_unused:UNUSED_PAD src0_sel:BYTE_3 src1_sel:DWORD
	v_cmp_eq_u64_e32 vcc, 0, v[10:11]
	v_cndmask_b32_e32 v36, v2, v36, vcc
; %bb.63:                               ;   in Loop: Header=BB19_31 Depth=2
	s_or_b64 exec, exec, s[2:3]
	v_lshlrev_b32_e32 v2, 16, v3
	v_div_scale_f32 v10, s[2:3], s95, s95, v2
	v_rcp_f32_e32 v35, v10
	v_div_scale_f32 v37, vcc, v2, s95, v2
	v_mov_b32_e32 v41, v11
	v_fma_f32 v38, -v10, v35, 1.0
	v_fmac_f32_e32 v35, v38, v35
	v_mul_f32_e32 v38, v37, v35
	v_fma_f32 v39, -v10, v38, v37
	v_fmac_f32_e32 v38, v39, v35
	v_fma_f32 v10, -v10, v38, v37
	v_div_fmas_f32 v10, v10, v35, v38
	v_div_fixup_f32 v35, v10, s95, v2
	v_and_b32_sdwa v2, v35, s58 dst_sel:DWORD dst_unused:UNUSED_PAD src0_sel:BYTE_3 src1_sel:DWORD
	v_and_b32_e32 v40, 0x7f800000, v35
	v_and_b32_e32 v10, 0x7fffff, v35
	v_or_b32_e32 v38, 0x7e, v2
	v_cmp_ne_u64_e32 vcc, s[62:63], v[40:41]
	s_and_saveexec_b64 s[2:3], vcc
	s_xor_b64 s[8:9], exec, s[2:3]
	s_cbranch_execz .LBB19_77
; %bb.64:                               ;   in Loop: Header=BB19_31 Depth=2
	v_and_b32_e32 v40, 0x7fffffff, v35
	v_mov_b32_e32 v41, v11
	v_cmp_gt_u64_e32 vcc, s[64:65], v[40:41]
	s_and_saveexec_b64 s[2:3], vcc
	s_xor_b64 s[10:11], exec, s[2:3]
	s_cbranch_execz .LBB19_76
; %bb.65:                               ;   in Loop: Header=BB19_31 Depth=2
	v_cmp_ne_u32_e32 vcc, 0, v35
	v_pk_mov_b32 v[38:39], 0, 0
	s_and_saveexec_b64 s[12:13], vcc
	s_cbranch_execz .LBB19_75
; %bb.66:                               ;   in Loop: Header=BB19_31 Depth=2
	v_bfe_u32 v35, v35, 23, 8
	v_sub_u32_e32 v38, 0x79, v35
	v_cmp_gt_u32_e32 vcc, s59, v35
	v_add_u32_e32 v37, 0xffffff81, v35
	v_cndmask_b32_e32 v38, 0, v38, vcc
	v_cmp_eq_u32_e32 vcc, 0, v35
	v_cndmask_b32_e32 v35, v37, v88, vcc
	v_cndmask_b32_e32 v37, v38, v89, vcc
	v_or_b32_e32 v39, 0x800000, v10
	v_add_u32_e32 v38, 20, v37
	v_cndmask_b32_e32 v10, v39, v10, vcc
	v_lshlrev_b64 v[38:39], v38, -1
	v_not_b32_e32 v38, v38
	v_lshrrev_b64 v[42:43], v37, v[10:11]
	v_not_b32_e32 v39, v39
	v_and_b32_e32 v38, v10, v38
	v_add_u32_e32 v40, 19, v37
	v_lshrrev_b32_e32 v10, 23, v42
	v_and_b32_e32 v39, 0, v39
	v_lshlrev_b64 v[40:41], v40, 1
	v_add3_u32 v37, v37, v35, v10
	v_bfe_u32 v10, v42, 20, 1
	v_add_u32_e32 v10, -1, v10
	v_cmp_eq_u64_e32 vcc, v[38:39], v[40:41]
	v_cndmask_b32_e32 v10, 0, v10, vcc
	v_add_u32_e32 v10, v10, v42
	v_and_b32_e32 v10, 0xfffff, v10
	v_add_co_u32_e32 v38, vcc, v10, v42
	v_add_u32_e32 v35, 6, v37
	v_addc_co_u32_e32 v39, vcc, 0, v43, vcc
	v_cmp_ne_u32_e32 vcc, 0, v35
                                        ; implicit-def: $vgpr10
	s_and_saveexec_b64 s[2:3], vcc
	s_xor_b64 s[2:3], exec, s[2:3]
; %bb.67:                               ;   in Loop: Header=BB19_31 Depth=2
	v_add_u32_e32 v10, 7, v37
	v_cmp_lt_u64_e32 vcc, s[66:67], v[38:39]
	v_cndmask_b32_e32 v10, v35, v10, vcc
	v_cndmask_b32_e64 v35, 0, 1, vcc
	v_lshrrev_b64 v[38:39], v35, v[38:39]
; %bb.68:                               ;   in Loop: Header=BB19_31 Depth=2
	s_andn2_saveexec_b64 s[2:3], s[2:3]
; %bb.69:                               ;   in Loop: Header=BB19_31 Depth=2
	v_bfe_u32 v10, v38, 23, 1
; %bb.70:                               ;   in Loop: Header=BB19_31 Depth=2
	s_or_b64 exec, exec, s[2:3]
	v_lshrrev_b64 v[38:39], 20, v[38:39]
	v_cmp_gt_i32_e32 vcc, 16, v10
	v_cndmask_b32_e32 v41, 0, v39, vcc
	v_cndmask_b32_e32 v40, 7, v38, vcc
	v_cmp_ne_u32_e32 vcc, 0, v10
	v_cmp_ne_u64_e64 s[2:3], 0, v[40:41]
	s_or_b64 s[2:3], vcc, s[2:3]
                                        ; implicit-def: $vgpr38_vgpr39
	s_and_saveexec_b64 s[14:15], s[2:3]
	s_xor_b64 s[2:3], exec, s[14:15]
; %bb.71:                               ;   in Loop: Header=BB19_31 Depth=2
	v_min_i32_e32 v10, 15, v10
	v_lshl_or_b32 v2, v10, 3, v2
	v_and_or_b32 v38, v40, 7, v2
                                        ; implicit-def: $vgpr2
; %bb.72:                               ;   in Loop: Header=BB19_31 Depth=2
	s_andn2_saveexec_b64 s[2:3], s[2:3]
; %bb.73:                               ;   in Loop: Header=BB19_31 Depth=2
	v_pk_mov_b32 v[38:39], v[2:3], v[2:3] op_sel:[0,1]
; %bb.74:                               ;   in Loop: Header=BB19_31 Depth=2
	s_or_b64 exec, exec, s[2:3]
.LBB19_75:                              ;   in Loop: Header=BB19_31 Depth=2
	s_or_b64 exec, exec, s[12:13]
.LBB19_76:                              ;   in Loop: Header=BB19_31 Depth=2
	s_andn2_saveexec_b64 s[2:3], s[10:11]
	s_or_b64 exec, exec, s[2:3]
                                        ; implicit-def: $vgpr35
.LBB19_77:                              ;   in Loop: Header=BB19_31 Depth=2
	s_andn2_saveexec_b64 s[2:3], s[8:9]
; %bb.78:                               ;   in Loop: Header=BB19_31 Depth=2
	v_or_b32_sdwa v2, v35, s40 dst_sel:DWORD dst_unused:UNUSED_PAD src0_sel:BYTE_3 src1_sel:DWORD
	v_cmp_eq_u64_e32 vcc, 0, v[10:11]
	v_cndmask_b32_e32 v38, v2, v38, vcc
; %bb.79:                               ;   in Loop: Header=BB19_31 Depth=2
	s_or_b64 exec, exec, s[2:3]
	v_and_b32_e32 v2, 0xffff0000, v3
	v_div_scale_f32 v3, s[2:3], s95, s95, v2
	v_rcp_f32_e32 v10, v3
	v_div_scale_f32 v35, vcc, v2, s95, v2
	v_mov_b32_e32 v43, v11
	v_fma_f32 v37, -v3, v10, 1.0
	v_fmac_f32_e32 v10, v37, v10
	v_mul_f32_e32 v37, v35, v10
	v_fma_f32 v39, -v3, v37, v35
	v_fmac_f32_e32 v37, v39, v10
	v_fma_f32 v3, -v3, v37, v35
	v_div_fmas_f32 v3, v3, v10, v37
	v_div_fixup_f32 v35, v3, s95, v2
	v_and_b32_sdwa v40, v35, s58 dst_sel:DWORD dst_unused:UNUSED_PAD src0_sel:BYTE_3 src1_sel:DWORD
	v_and_b32_e32 v42, 0x7f800000, v35
	v_and_b32_e32 v10, 0x7fffff, v35
	v_or_b32_e32 v2, 0x7e, v40
	v_cmp_ne_u64_e32 vcc, s[62:63], v[42:43]
	s_and_saveexec_b64 s[2:3], vcc
	s_xor_b64 s[8:9], exec, s[2:3]
	s_cbranch_execz .LBB19_93
; %bb.80:                               ;   in Loop: Header=BB19_31 Depth=2
	v_and_b32_e32 v42, 0x7fffffff, v35
	v_mov_b32_e32 v43, v11
	v_cmp_gt_u64_e32 vcc, s[64:65], v[42:43]
	s_and_saveexec_b64 s[2:3], vcc
	s_xor_b64 s[10:11], exec, s[2:3]
	s_cbranch_execz .LBB19_92
; %bb.81:                               ;   in Loop: Header=BB19_31 Depth=2
	v_cmp_ne_u32_e32 vcc, 0, v35
	v_pk_mov_b32 v[2:3], 0, 0
	s_and_saveexec_b64 s[12:13], vcc
	s_cbranch_execz .LBB19_91
; %bb.82:                               ;   in Loop: Header=BB19_31 Depth=2
	v_bfe_u32 v2, v35, 23, 8
	v_sub_u32_e32 v35, 0x79, v2
	v_cmp_gt_u32_e32 vcc, s59, v2
	v_cndmask_b32_e32 v35, 0, v35, vcc
	v_cmp_eq_u32_e32 vcc, 0, v2
	v_cndmask_b32_e32 v35, v35, v89, vcc
	v_add_u32_e32 v3, 0xffffff81, v2
	v_or_b32_e32 v37, 0x800000, v10
	v_add_u32_e32 v2, 20, v35
	v_cndmask_b32_e32 v39, v3, v88, vcc
	v_cndmask_b32_e32 v10, v37, v10, vcc
	v_lshlrev_b64 v[2:3], v2, -1
	v_not_b32_e32 v2, v2
	v_lshrrev_b64 v[44:45], v35, v[10:11]
	v_not_b32_e32 v3, v3
	v_and_b32_e32 v2, v10, v2
	v_add_u32_e32 v37, 19, v35
	v_lshrrev_b32_e32 v10, 23, v44
	v_and_b32_e32 v3, 0, v3
	v_lshlrev_b64 v[42:43], v37, 1
	v_add3_u32 v37, v35, v39, v10
	v_bfe_u32 v10, v44, 20, 1
	v_add_u32_e32 v10, -1, v10
	v_cmp_eq_u64_e32 vcc, v[2:3], v[42:43]
	v_cndmask_b32_e32 v2, 0, v10, vcc
	v_add_u32_e32 v2, v2, v44
	v_and_b32_e32 v2, 0xfffff, v2
	v_add_co_u32_e32 v2, vcc, v2, v44
	v_add_u32_e32 v35, 6, v37
	v_addc_co_u32_e32 v3, vcc, 0, v45, vcc
	v_cmp_ne_u32_e32 vcc, 0, v35
                                        ; implicit-def: $vgpr10
	s_and_saveexec_b64 s[2:3], vcc
	s_xor_b64 s[2:3], exec, s[2:3]
; %bb.83:                               ;   in Loop: Header=BB19_31 Depth=2
	v_add_u32_e32 v10, 7, v37
	v_cmp_lt_u64_e32 vcc, s[66:67], v[2:3]
	v_cndmask_b32_e32 v10, v35, v10, vcc
	v_cndmask_b32_e64 v35, 0, 1, vcc
	v_lshrrev_b64 v[2:3], v35, v[2:3]
; %bb.84:                               ;   in Loop: Header=BB19_31 Depth=2
	s_andn2_saveexec_b64 s[2:3], s[2:3]
; %bb.85:                               ;   in Loop: Header=BB19_31 Depth=2
	v_bfe_u32 v10, v2, 23, 1
; %bb.86:                               ;   in Loop: Header=BB19_31 Depth=2
	s_or_b64 exec, exec, s[2:3]
	v_lshrrev_b64 v[2:3], 20, v[2:3]
	v_cmp_gt_i32_e32 vcc, 16, v10
	v_cndmask_b32_e32 v43, 0, v3, vcc
	v_cndmask_b32_e32 v42, 7, v2, vcc
	v_cmp_ne_u32_e32 vcc, 0, v10
	v_cmp_ne_u64_e64 s[2:3], 0, v[42:43]
	s_or_b64 s[2:3], vcc, s[2:3]
                                        ; implicit-def: $vgpr2_vgpr3
	s_and_saveexec_b64 s[14:15], s[2:3]
	s_xor_b64 s[2:3], exec, s[14:15]
; %bb.87:                               ;   in Loop: Header=BB19_31 Depth=2
	v_min_i32_e32 v2, 15, v10
	v_lshl_or_b32 v2, v2, 3, v40
	v_and_or_b32 v2, v42, 7, v2
                                        ; implicit-def: $vgpr40
; %bb.88:                               ;   in Loop: Header=BB19_31 Depth=2
	s_andn2_saveexec_b64 s[2:3], s[2:3]
; %bb.89:                               ;   in Loop: Header=BB19_31 Depth=2
	v_pk_mov_b32 v[2:3], v[40:41], v[40:41] op_sel:[0,1]
; %bb.90:                               ;   in Loop: Header=BB19_31 Depth=2
	s_or_b64 exec, exec, s[2:3]
.LBB19_91:                              ;   in Loop: Header=BB19_31 Depth=2
	s_or_b64 exec, exec, s[12:13]
.LBB19_92:                              ;   in Loop: Header=BB19_31 Depth=2
	s_andn2_saveexec_b64 s[2:3], s[10:11]
	s_or_b64 exec, exec, s[2:3]
                                        ; implicit-def: $vgpr35
.LBB19_93:                              ;   in Loop: Header=BB19_31 Depth=2
	s_andn2_saveexec_b64 s[2:3], s[8:9]
; %bb.94:                               ;   in Loop: Header=BB19_31 Depth=2
	v_or_b32_sdwa v3, v35, s40 dst_sel:DWORD dst_unused:UNUSED_PAD src0_sel:BYTE_3 src1_sel:DWORD
	v_cmp_eq_u64_e32 vcc, 0, v[10:11]
	v_cndmask_b32_e32 v2, v3, v2, vcc
; %bb.95:                               ;   in Loop: Header=BB19_31 Depth=2
	s_or_b64 exec, exec, s[2:3]
	v_lshlrev_b32_e32 v3, 16, v4
	v_div_scale_f32 v10, s[2:3], s95, s95, v3
	v_rcp_f32_e32 v35, v10
	v_div_scale_f32 v37, vcc, v3, s95, v3
	v_mov_b32_e32 v45, v11
	v_fma_f32 v39, -v10, v35, 1.0
	v_fmac_f32_e32 v35, v39, v35
	v_mul_f32_e32 v39, v37, v35
	v_fma_f32 v40, -v10, v39, v37
	v_fmac_f32_e32 v39, v40, v35
	v_fma_f32 v10, -v10, v39, v37
	v_div_fmas_f32 v10, v10, v35, v39
	v_div_fixup_f32 v3, v10, s95, v3
	v_and_b32_sdwa v42, v3, s58 dst_sel:DWORD dst_unused:UNUSED_PAD src0_sel:BYTE_3 src1_sel:DWORD
	v_and_b32_e32 v44, 0x7f800000, v3
	v_and_b32_e32 v10, 0x7fffff, v3
	v_or_b32_e32 v40, 0x7e, v42
	v_cmp_ne_u64_e32 vcc, s[62:63], v[44:45]
	s_and_saveexec_b64 s[2:3], vcc
	s_xor_b64 s[8:9], exec, s[2:3]
	s_cbranch_execz .LBB19_109
; %bb.96:                               ;   in Loop: Header=BB19_31 Depth=2
	v_and_b32_e32 v44, 0x7fffffff, v3
	v_mov_b32_e32 v45, v11
	v_cmp_gt_u64_e32 vcc, s[64:65], v[44:45]
	s_and_saveexec_b64 s[2:3], vcc
	s_xor_b64 s[10:11], exec, s[2:3]
	s_cbranch_execz .LBB19_108
; %bb.97:                               ;   in Loop: Header=BB19_31 Depth=2
	v_cmp_ne_u32_e32 vcc, 0, v3
	v_pk_mov_b32 v[40:41], 0, 0
	s_and_saveexec_b64 s[12:13], vcc
	s_cbranch_execz .LBB19_107
; %bb.98:                               ;   in Loop: Header=BB19_31 Depth=2
	v_bfe_u32 v3, v3, 23, 8
	v_sub_u32_e32 v37, 0x79, v3
	v_cmp_gt_u32_e32 vcc, s59, v3
	v_add_u32_e32 v35, 0xffffff81, v3
	v_cndmask_b32_e32 v37, 0, v37, vcc
	v_cmp_eq_u32_e32 vcc, 0, v3
	v_cndmask_b32_e32 v3, v35, v88, vcc
	v_cndmask_b32_e32 v35, v37, v89, vcc
	v_or_b32_e32 v39, 0x800000, v10
	v_add_u32_e32 v37, 20, v35
	v_cndmask_b32_e32 v10, v39, v10, vcc
	v_lshlrev_b64 v[40:41], v37, -1
	v_not_b32_e32 v37, v41
	v_not_b32_e32 v39, v40
	v_lshrrev_b64 v[46:47], v35, v[10:11]
	v_and_b32_e32 v41, 0, v37
	v_and_b32_e32 v40, v10, v39
	v_add_u32_e32 v37, 19, v35
	v_lshrrev_b32_e32 v10, 23, v46
	v_lshlrev_b64 v[44:45], v37, 1
	v_add3_u32 v35, v35, v3, v10
	v_bfe_u32 v3, v46, 20, 1
	v_add_u32_e32 v3, -1, v3
	v_cmp_eq_u64_e32 vcc, v[40:41], v[44:45]
	v_cndmask_b32_e32 v3, 0, v3, vcc
	v_add_u32_e32 v3, v3, v46
	v_and_b32_e32 v3, 0xfffff, v3
	v_add_co_u32_e32 v40, vcc, v3, v46
	v_add_u32_e32 v10, 6, v35
	v_addc_co_u32_e32 v41, vcc, 0, v47, vcc
	v_cmp_ne_u32_e32 vcc, 0, v10
                                        ; implicit-def: $vgpr3
	s_and_saveexec_b64 s[2:3], vcc
	s_xor_b64 s[2:3], exec, s[2:3]
; %bb.99:                               ;   in Loop: Header=BB19_31 Depth=2
	v_add_u32_e32 v3, 7, v35
	v_cmp_lt_u64_e32 vcc, s[66:67], v[40:41]
	v_cndmask_b32_e32 v3, v10, v3, vcc
	v_cndmask_b32_e64 v10, 0, 1, vcc
	v_lshrrev_b64 v[40:41], v10, v[40:41]
; %bb.100:                              ;   in Loop: Header=BB19_31 Depth=2
	s_andn2_saveexec_b64 s[2:3], s[2:3]
; %bb.101:                              ;   in Loop: Header=BB19_31 Depth=2
	v_bfe_u32 v3, v40, 23, 1
; %bb.102:                              ;   in Loop: Header=BB19_31 Depth=2
	s_or_b64 exec, exec, s[2:3]
	v_lshrrev_b64 v[40:41], 20, v[40:41]
	v_cmp_gt_i32_e32 vcc, 16, v3
	v_cndmask_b32_e32 v45, 0, v41, vcc
	v_cndmask_b32_e32 v44, 7, v40, vcc
	v_cmp_ne_u32_e32 vcc, 0, v3
	v_cmp_ne_u64_e64 s[2:3], 0, v[44:45]
	s_or_b64 s[2:3], vcc, s[2:3]
                                        ; implicit-def: $vgpr40_vgpr41
	s_and_saveexec_b64 s[14:15], s[2:3]
	s_xor_b64 s[2:3], exec, s[14:15]
; %bb.103:                              ;   in Loop: Header=BB19_31 Depth=2
	v_min_i32_e32 v3, 15, v3
	v_lshl_or_b32 v3, v3, 3, v42
	v_and_or_b32 v40, v44, 7, v3
                                        ; implicit-def: $vgpr42
; %bb.104:                              ;   in Loop: Header=BB19_31 Depth=2
	s_andn2_saveexec_b64 s[2:3], s[2:3]
; %bb.105:                              ;   in Loop: Header=BB19_31 Depth=2
	v_pk_mov_b32 v[40:41], v[42:43], v[42:43] op_sel:[0,1]
; %bb.106:                              ;   in Loop: Header=BB19_31 Depth=2
	s_or_b64 exec, exec, s[2:3]
.LBB19_107:                             ;   in Loop: Header=BB19_31 Depth=2
	s_or_b64 exec, exec, s[12:13]
.LBB19_108:                             ;   in Loop: Header=BB19_31 Depth=2
	s_andn2_saveexec_b64 s[2:3], s[10:11]
	s_or_b64 exec, exec, s[2:3]
                                        ; implicit-def: $vgpr3
.LBB19_109:                             ;   in Loop: Header=BB19_31 Depth=2
	s_andn2_saveexec_b64 s[2:3], s[8:9]
; %bb.110:                              ;   in Loop: Header=BB19_31 Depth=2
	v_or_b32_sdwa v3, v3, s40 dst_sel:DWORD dst_unused:UNUSED_PAD src0_sel:BYTE_3 src1_sel:DWORD
	v_cmp_eq_u64_e32 vcc, 0, v[10:11]
	v_cndmask_b32_e32 v40, v3, v40, vcc
; %bb.111:                              ;   in Loop: Header=BB19_31 Depth=2
	s_or_b64 exec, exec, s[2:3]
	v_and_b32_e32 v3, 0xffff0000, v4
	v_div_scale_f32 v4, s[2:3], s95, s95, v3
	v_rcp_f32_e32 v10, v4
	v_div_scale_f32 v35, vcc, v3, s95, v3
	v_mov_b32_e32 v45, v11
	v_fma_f32 v37, -v4, v10, 1.0
	v_fmac_f32_e32 v10, v37, v10
	v_mul_f32_e32 v37, v35, v10
	v_fma_f32 v39, -v4, v37, v35
	v_fmac_f32_e32 v37, v39, v10
	v_fma_f32 v4, -v4, v37, v35
	v_div_fmas_f32 v4, v4, v10, v37
	v_div_fixup_f32 v3, v4, s95, v3
	v_and_b32_sdwa v4, v3, s58 dst_sel:DWORD dst_unused:UNUSED_PAD src0_sel:BYTE_3 src1_sel:DWORD
	v_and_b32_e32 v44, 0x7f800000, v3
	v_and_b32_e32 v10, 0x7fffff, v3
	v_or_b32_e32 v42, 0x7e, v4
	v_cmp_ne_u64_e32 vcc, s[62:63], v[44:45]
	s_and_saveexec_b64 s[2:3], vcc
	s_xor_b64 s[8:9], exec, s[2:3]
	s_cbranch_execz .LBB19_125
; %bb.112:                              ;   in Loop: Header=BB19_31 Depth=2
	v_and_b32_e32 v44, 0x7fffffff, v3
	v_mov_b32_e32 v45, v11
	v_cmp_gt_u64_e32 vcc, s[64:65], v[44:45]
	s_and_saveexec_b64 s[2:3], vcc
	s_xor_b64 s[10:11], exec, s[2:3]
	s_cbranch_execz .LBB19_124
; %bb.113:                              ;   in Loop: Header=BB19_31 Depth=2
	v_cmp_ne_u32_e32 vcc, 0, v3
	v_pk_mov_b32 v[42:43], 0, 0
	s_and_saveexec_b64 s[12:13], vcc
	s_cbranch_execz .LBB19_123
; %bb.114:                              ;   in Loop: Header=BB19_31 Depth=2
	v_bfe_u32 v3, v3, 23, 8
	v_sub_u32_e32 v37, 0x79, v3
	v_cmp_gt_u32_e32 vcc, s59, v3
	v_add_u32_e32 v35, 0xffffff81, v3
	v_cndmask_b32_e32 v37, 0, v37, vcc
	v_cmp_eq_u32_e32 vcc, 0, v3
	v_cndmask_b32_e32 v3, v35, v88, vcc
	v_cndmask_b32_e32 v35, v37, v89, vcc
	v_or_b32_e32 v39, 0x800000, v10
	v_add_u32_e32 v37, 20, v35
	v_cndmask_b32_e32 v10, v39, v10, vcc
	v_lshlrev_b64 v[42:43], v37, -1
	v_not_b32_e32 v37, v43
	v_not_b32_e32 v39, v42
	v_lshrrev_b64 v[46:47], v35, v[10:11]
	v_and_b32_e32 v43, 0, v37
	v_and_b32_e32 v42, v10, v39
	v_add_u32_e32 v37, 19, v35
	v_lshrrev_b32_e32 v10, 23, v46
	v_lshlrev_b64 v[44:45], v37, 1
	v_add3_u32 v35, v35, v3, v10
	v_bfe_u32 v3, v46, 20, 1
	v_add_u32_e32 v3, -1, v3
	v_cmp_eq_u64_e32 vcc, v[42:43], v[44:45]
	v_cndmask_b32_e32 v3, 0, v3, vcc
	v_add_u32_e32 v3, v3, v46
	v_and_b32_e32 v3, 0xfffff, v3
	v_add_co_u32_e32 v42, vcc, v3, v46
	v_add_u32_e32 v10, 6, v35
	v_addc_co_u32_e32 v43, vcc, 0, v47, vcc
	v_cmp_ne_u32_e32 vcc, 0, v10
                                        ; implicit-def: $vgpr3
	s_and_saveexec_b64 s[2:3], vcc
	s_xor_b64 s[2:3], exec, s[2:3]
; %bb.115:                              ;   in Loop: Header=BB19_31 Depth=2
	v_add_u32_e32 v3, 7, v35
	v_cmp_lt_u64_e32 vcc, s[66:67], v[42:43]
	v_cndmask_b32_e32 v3, v10, v3, vcc
	v_cndmask_b32_e64 v10, 0, 1, vcc
	v_lshrrev_b64 v[42:43], v10, v[42:43]
; %bb.116:                              ;   in Loop: Header=BB19_31 Depth=2
	s_andn2_saveexec_b64 s[2:3], s[2:3]
; %bb.117:                              ;   in Loop: Header=BB19_31 Depth=2
	v_bfe_u32 v3, v42, 23, 1
; %bb.118:                              ;   in Loop: Header=BB19_31 Depth=2
	s_or_b64 exec, exec, s[2:3]
	v_lshrrev_b64 v[42:43], 20, v[42:43]
	v_cmp_gt_i32_e32 vcc, 16, v3
	v_cndmask_b32_e32 v45, 0, v43, vcc
	v_cndmask_b32_e32 v44, 7, v42, vcc
	v_cmp_ne_u32_e32 vcc, 0, v3
	v_cmp_ne_u64_e64 s[2:3], 0, v[44:45]
	s_or_b64 s[2:3], vcc, s[2:3]
                                        ; implicit-def: $vgpr42_vgpr43
	s_and_saveexec_b64 s[14:15], s[2:3]
	s_xor_b64 s[2:3], exec, s[14:15]
; %bb.119:                              ;   in Loop: Header=BB19_31 Depth=2
	v_min_i32_e32 v3, 15, v3
	v_lshl_or_b32 v3, v3, 3, v4
	v_and_or_b32 v42, v44, 7, v3
                                        ; implicit-def: $vgpr4
; %bb.120:                              ;   in Loop: Header=BB19_31 Depth=2
	s_andn2_saveexec_b64 s[2:3], s[2:3]
; %bb.121:                              ;   in Loop: Header=BB19_31 Depth=2
	v_pk_mov_b32 v[42:43], v[4:5], v[4:5] op_sel:[0,1]
; %bb.122:                              ;   in Loop: Header=BB19_31 Depth=2
	s_or_b64 exec, exec, s[2:3]
.LBB19_123:                             ;   in Loop: Header=BB19_31 Depth=2
	s_or_b64 exec, exec, s[12:13]
.LBB19_124:                             ;   in Loop: Header=BB19_31 Depth=2
	s_andn2_saveexec_b64 s[2:3], s[10:11]
	s_or_b64 exec, exec, s[2:3]
                                        ; implicit-def: $vgpr3
.LBB19_125:                             ;   in Loop: Header=BB19_31 Depth=2
	s_andn2_saveexec_b64 s[2:3], s[8:9]
; %bb.126:                              ;   in Loop: Header=BB19_31 Depth=2
	v_or_b32_sdwa v3, v3, s40 dst_sel:DWORD dst_unused:UNUSED_PAD src0_sel:BYTE_3 src1_sel:DWORD
	v_cmp_eq_u64_e32 vcc, 0, v[10:11]
	v_cndmask_b32_e32 v42, v3, v42, vcc
; %bb.127:                              ;   in Loop: Header=BB19_31 Depth=2
	s_or_b64 exec, exec, s[2:3]
	v_lshlrev_b32_e32 v3, 16, v5
	v_div_scale_f32 v4, s[2:3], s95, s95, v3
	v_rcp_f32_e32 v10, v4
	v_div_scale_f32 v35, vcc, v3, s95, v3
	v_mov_b32_e32 v47, v11
	v_fma_f32 v37, -v4, v10, 1.0
	v_fmac_f32_e32 v10, v37, v10
	v_mul_f32_e32 v37, v35, v10
	v_fma_f32 v39, -v4, v37, v35
	v_fmac_f32_e32 v37, v39, v10
	v_fma_f32 v4, -v4, v37, v35
	v_div_fmas_f32 v4, v4, v10, v37
	v_div_fixup_f32 v3, v4, s95, v3
	v_and_b32_sdwa v4, v3, s58 dst_sel:DWORD dst_unused:UNUSED_PAD src0_sel:BYTE_3 src1_sel:DWORD
	v_and_b32_e32 v46, 0x7f800000, v3
	v_and_b32_e32 v10, 0x7fffff, v3
	v_or_b32_e32 v44, 0x7e, v4
	v_cmp_ne_u64_e32 vcc, s[62:63], v[46:47]
	s_and_saveexec_b64 s[2:3], vcc
	s_xor_b64 s[8:9], exec, s[2:3]
	s_cbranch_execz .LBB19_141
; %bb.128:                              ;   in Loop: Header=BB19_31 Depth=2
	v_and_b32_e32 v46, 0x7fffffff, v3
	v_mov_b32_e32 v47, v11
	v_cmp_gt_u64_e32 vcc, s[64:65], v[46:47]
	s_and_saveexec_b64 s[2:3], vcc
	s_xor_b64 s[10:11], exec, s[2:3]
	s_cbranch_execz .LBB19_140
; %bb.129:                              ;   in Loop: Header=BB19_31 Depth=2
	v_cmp_ne_u32_e32 vcc, 0, v3
	v_pk_mov_b32 v[44:45], 0, 0
	s_and_saveexec_b64 s[12:13], vcc
	s_cbranch_execz .LBB19_139
; %bb.130:                              ;   in Loop: Header=BB19_31 Depth=2
	v_bfe_u32 v3, v3, 23, 8
	v_sub_u32_e32 v37, 0x79, v3
	v_cmp_gt_u32_e32 vcc, s59, v3
	v_add_u32_e32 v35, 0xffffff81, v3
	v_cndmask_b32_e32 v37, 0, v37, vcc
	v_cmp_eq_u32_e32 vcc, 0, v3
	v_cndmask_b32_e32 v3, v35, v88, vcc
	v_cndmask_b32_e32 v35, v37, v89, vcc
	v_or_b32_e32 v39, 0x800000, v10
	v_add_u32_e32 v37, 20, v35
	v_cndmask_b32_e32 v10, v39, v10, vcc
	v_lshlrev_b64 v[44:45], v37, -1
	v_not_b32_e32 v37, v45
	v_not_b32_e32 v39, v44
	v_lshrrev_b64 v[48:49], v35, v[10:11]
	v_and_b32_e32 v45, 0, v37
	v_and_b32_e32 v44, v10, v39
	v_add_u32_e32 v37, 19, v35
	v_lshrrev_b32_e32 v10, 23, v48
	v_lshlrev_b64 v[46:47], v37, 1
	v_add3_u32 v35, v35, v3, v10
	v_bfe_u32 v3, v48, 20, 1
	v_add_u32_e32 v3, -1, v3
	v_cmp_eq_u64_e32 vcc, v[44:45], v[46:47]
	v_cndmask_b32_e32 v3, 0, v3, vcc
	v_add_u32_e32 v3, v3, v48
	v_and_b32_e32 v3, 0xfffff, v3
	v_add_co_u32_e32 v44, vcc, v3, v48
	v_add_u32_e32 v10, 6, v35
	v_addc_co_u32_e32 v45, vcc, 0, v49, vcc
	v_cmp_ne_u32_e32 vcc, 0, v10
                                        ; implicit-def: $vgpr3
	s_and_saveexec_b64 s[2:3], vcc
	s_xor_b64 s[2:3], exec, s[2:3]
; %bb.131:                              ;   in Loop: Header=BB19_31 Depth=2
	v_add_u32_e32 v3, 7, v35
	v_cmp_lt_u64_e32 vcc, s[66:67], v[44:45]
	v_cndmask_b32_e32 v3, v10, v3, vcc
	v_cndmask_b32_e64 v10, 0, 1, vcc
	v_lshrrev_b64 v[44:45], v10, v[44:45]
; %bb.132:                              ;   in Loop: Header=BB19_31 Depth=2
	s_andn2_saveexec_b64 s[2:3], s[2:3]
; %bb.133:                              ;   in Loop: Header=BB19_31 Depth=2
	v_bfe_u32 v3, v44, 23, 1
; %bb.134:                              ;   in Loop: Header=BB19_31 Depth=2
	s_or_b64 exec, exec, s[2:3]
	v_lshrrev_b64 v[44:45], 20, v[44:45]
	v_cmp_gt_i32_e32 vcc, 16, v3
	v_cndmask_b32_e32 v47, 0, v45, vcc
	v_cndmask_b32_e32 v46, 7, v44, vcc
	v_cmp_ne_u32_e32 vcc, 0, v3
	v_cmp_ne_u64_e64 s[2:3], 0, v[46:47]
	s_or_b64 s[2:3], vcc, s[2:3]
                                        ; implicit-def: $vgpr44_vgpr45
	s_and_saveexec_b64 s[14:15], s[2:3]
	s_xor_b64 s[2:3], exec, s[14:15]
; %bb.135:                              ;   in Loop: Header=BB19_31 Depth=2
	v_min_i32_e32 v3, 15, v3
	v_lshl_or_b32 v3, v3, 3, v4
	v_and_or_b32 v44, v46, 7, v3
                                        ; implicit-def: $vgpr4
; %bb.136:                              ;   in Loop: Header=BB19_31 Depth=2
	s_andn2_saveexec_b64 s[2:3], s[2:3]
; %bb.137:                              ;   in Loop: Header=BB19_31 Depth=2
	v_pk_mov_b32 v[44:45], v[4:5], v[4:5] op_sel:[0,1]
; %bb.138:                              ;   in Loop: Header=BB19_31 Depth=2
	s_or_b64 exec, exec, s[2:3]
.LBB19_139:                             ;   in Loop: Header=BB19_31 Depth=2
	s_or_b64 exec, exec, s[12:13]
.LBB19_140:                             ;   in Loop: Header=BB19_31 Depth=2
	s_andn2_saveexec_b64 s[2:3], s[10:11]
	s_or_b64 exec, exec, s[2:3]
                                        ; implicit-def: $vgpr3
.LBB19_141:                             ;   in Loop: Header=BB19_31 Depth=2
	s_andn2_saveexec_b64 s[2:3], s[8:9]
; %bb.142:                              ;   in Loop: Header=BB19_31 Depth=2
	v_or_b32_sdwa v3, v3, s40 dst_sel:DWORD dst_unused:UNUSED_PAD src0_sel:BYTE_3 src1_sel:DWORD
	v_cmp_eq_u64_e32 vcc, 0, v[10:11]
	v_cndmask_b32_e32 v44, v3, v44, vcc
; %bb.143:                              ;   in Loop: Header=BB19_31 Depth=2
	s_or_b64 exec, exec, s[2:3]
	v_and_b32_e32 v3, 0xffff0000, v5
	v_div_scale_f32 v4, s[2:3], s95, s95, v3
	v_rcp_f32_e32 v5, v4
	v_div_scale_f32 v10, vcc, v3, s95, v3
	v_mov_b32_e32 v49, v11
	v_fma_f32 v35, -v4, v5, 1.0
	v_fmac_f32_e32 v5, v35, v5
	v_mul_f32_e32 v35, v10, v5
	v_fma_f32 v37, -v4, v35, v10
	v_fmac_f32_e32 v35, v37, v5
	v_fma_f32 v4, -v4, v35, v10
	v_div_fmas_f32 v4, v4, v5, v35
	v_div_fixup_f32 v3, v4, s95, v3
	v_and_b32_sdwa v4, v3, s58 dst_sel:DWORD dst_unused:UNUSED_PAD src0_sel:BYTE_3 src1_sel:DWORD
	v_and_b32_e32 v48, 0x7f800000, v3
	v_and_b32_e32 v10, 0x7fffff, v3
	v_or_b32_e32 v46, 0x7e, v4
	v_cmp_ne_u64_e32 vcc, s[62:63], v[48:49]
	s_and_saveexec_b64 s[2:3], vcc
	s_xor_b64 s[8:9], exec, s[2:3]
	s_cbranch_execz .LBB19_157
; %bb.144:                              ;   in Loop: Header=BB19_31 Depth=2
	v_and_b32_e32 v48, 0x7fffffff, v3
	v_mov_b32_e32 v49, v11
	v_cmp_gt_u64_e32 vcc, s[64:65], v[48:49]
	s_and_saveexec_b64 s[2:3], vcc
	s_xor_b64 s[10:11], exec, s[2:3]
	s_cbranch_execz .LBB19_156
; %bb.145:                              ;   in Loop: Header=BB19_31 Depth=2
	v_cmp_ne_u32_e32 vcc, 0, v3
	v_pk_mov_b32 v[46:47], 0, 0
	s_and_saveexec_b64 s[12:13], vcc
	s_cbranch_execz .LBB19_155
; %bb.146:                              ;   in Loop: Header=BB19_31 Depth=2
	v_bfe_u32 v3, v3, 23, 8
	v_sub_u32_e32 v35, 0x79, v3
	v_cmp_gt_u32_e32 vcc, s59, v3
	v_add_u32_e32 v5, 0xffffff81, v3
	v_cndmask_b32_e32 v35, 0, v35, vcc
	v_cmp_eq_u32_e32 vcc, 0, v3
	v_cndmask_b32_e32 v3, v5, v88, vcc
	v_cndmask_b32_e32 v5, v35, v89, vcc
	v_or_b32_e32 v37, 0x800000, v10
	v_add_u32_e32 v35, 20, v5
	v_cndmask_b32_e32 v10, v37, v10, vcc
	v_lshlrev_b64 v[46:47], v35, -1
	v_not_b32_e32 v35, v47
	v_not_b32_e32 v37, v46
	v_lshrrev_b64 v[56:57], v5, v[10:11]
	v_and_b32_e32 v47, 0, v35
	v_and_b32_e32 v46, v10, v37
	v_add_u32_e32 v35, 19, v5
	v_lshrrev_b32_e32 v10, 23, v56
	v_lshlrev_b64 v[48:49], v35, 1
	v_add3_u32 v10, v5, v3, v10
	v_bfe_u32 v3, v56, 20, 1
	v_add_u32_e32 v3, -1, v3
	v_cmp_eq_u64_e32 vcc, v[46:47], v[48:49]
	v_cndmask_b32_e32 v3, 0, v3, vcc
	v_add_u32_e32 v3, v3, v56
	v_and_b32_e32 v3, 0xfffff, v3
	v_add_co_u32_e32 v46, vcc, v3, v56
	v_add_u32_e32 v5, 6, v10
	v_addc_co_u32_e32 v47, vcc, 0, v57, vcc
	v_cmp_ne_u32_e32 vcc, 0, v5
                                        ; implicit-def: $vgpr3
	s_and_saveexec_b64 s[2:3], vcc
	s_xor_b64 s[2:3], exec, s[2:3]
; %bb.147:                              ;   in Loop: Header=BB19_31 Depth=2
	v_add_u32_e32 v3, 7, v10
	v_cmp_lt_u64_e32 vcc, s[66:67], v[46:47]
	v_cndmask_b32_e32 v3, v5, v3, vcc
	v_cndmask_b32_e64 v5, 0, 1, vcc
	v_lshrrev_b64 v[46:47], v5, v[46:47]
; %bb.148:                              ;   in Loop: Header=BB19_31 Depth=2
	s_andn2_saveexec_b64 s[2:3], s[2:3]
; %bb.149:                              ;   in Loop: Header=BB19_31 Depth=2
	v_bfe_u32 v3, v46, 23, 1
; %bb.150:                              ;   in Loop: Header=BB19_31 Depth=2
	s_or_b64 exec, exec, s[2:3]
	v_lshrrev_b64 v[46:47], 20, v[46:47]
	v_cmp_gt_i32_e32 vcc, 16, v3
	v_cndmask_b32_e32 v49, 0, v47, vcc
	v_cndmask_b32_e32 v48, 7, v46, vcc
	v_cmp_ne_u32_e32 vcc, 0, v3
	v_cmp_ne_u64_e64 s[2:3], 0, v[48:49]
	s_or_b64 s[2:3], vcc, s[2:3]
                                        ; implicit-def: $vgpr46_vgpr47
	s_and_saveexec_b64 s[14:15], s[2:3]
	s_xor_b64 s[2:3], exec, s[14:15]
; %bb.151:                              ;   in Loop: Header=BB19_31 Depth=2
	v_min_i32_e32 v3, 15, v3
	v_lshl_or_b32 v3, v3, 3, v4
	v_and_or_b32 v46, v48, 7, v3
                                        ; implicit-def: $vgpr4
; %bb.152:                              ;   in Loop: Header=BB19_31 Depth=2
	s_andn2_saveexec_b64 s[2:3], s[2:3]
; %bb.153:                              ;   in Loop: Header=BB19_31 Depth=2
	v_pk_mov_b32 v[46:47], v[4:5], v[4:5] op_sel:[0,1]
; %bb.154:                              ;   in Loop: Header=BB19_31 Depth=2
	s_or_b64 exec, exec, s[2:3]
.LBB19_155:                             ;   in Loop: Header=BB19_31 Depth=2
	s_or_b64 exec, exec, s[12:13]
.LBB19_156:                             ;   in Loop: Header=BB19_31 Depth=2
	s_andn2_saveexec_b64 s[2:3], s[10:11]
	s_or_b64 exec, exec, s[2:3]
                                        ; implicit-def: $vgpr3
.LBB19_157:                             ;   in Loop: Header=BB19_31 Depth=2
	s_andn2_saveexec_b64 s[2:3], s[8:9]
	s_cbranch_execz .LBB19_30
; %bb.158:                              ;   in Loop: Header=BB19_31 Depth=2
	v_or_b32_sdwa v3, v3, s40 dst_sel:DWORD dst_unused:UNUSED_PAD src0_sel:BYTE_3 src1_sel:DWORD
	v_cmp_eq_u64_e32 vcc, 0, v[10:11]
	v_cndmask_b32_e32 v46, v3, v46, vcc
	s_branch .LBB19_30
.LBB19_159:                             ;   in Loop: Header=BB19_9 Depth=1
	s_or_b64 exec, exec, s[4:5]
	v_lshlrev_b32_e32 v3, 3, v54
	v_add_u32_e32 v2, v3, v8
	v_cmp_lt_i32_e32 vcc, v2, v25
	s_and_saveexec_b64 s[72:73], vcc
	s_cbranch_execz .LBB19_183
; %bb.160:                              ;   in Loop: Header=BB19_9 Depth=1
	v_add_u32_e32 v4, v82, v3
	v_max_i32_e32 v4, v4, v25
	v_add_u32_e32 v4, v4, v21
	v_sub_u32_e32 v3, v4, v3
	v_cmp_lt_u32_e32 vcc, s21, v3
	s_mov_b64 s[2:3], -1
	s_and_saveexec_b64 s[74:75], vcc
	s_cbranch_execz .LBB19_164
; %bb.161:                              ;   in Loop: Header=BB19_9 Depth=1
	v_lshrrev_b32_e32 v3, 5, v3
	v_add_co_u32_e32 v79, vcc, v50, v30
	v_add_u32_e32 v78, 1, v3
	v_addc_co_u32_e32 v81, vcc, v51, v31, vcc
	v_add_u32_e32 v5, 0x60, v2
	v_add_u32_e32 v4, 64, v2
	v_add_co_u32_e32 v90, vcc, v52, v28
	v_and_b32_e32 v80, 0xffffffc, v78
	v_add_u32_e32 v3, 32, v2
	v_pk_mov_b32 v[6:7], v[4:5], v[4:5] op_sel:[0,1]
	v_addc_co_u32_e32 v91, vcc, v53, v29, vcc
	s_mov_b64 s[76:77], 0
	v_mov_b32_e32 v92, v80
	v_pk_mov_b32 v[4:5], v[2:3], v[2:3] op_sel:[0,1]
.LBB19_162:                             ;   Parent Loop BB19_9 Depth=1
                                        ; =>  This Inner Loop Header: Depth=2
	v_ashrrev_i32_e32 v67, 31, v7
	v_ashrrev_i32_e32 v69, 31, v6
	;; [unrolled: 1-line block ×4, first 2 shown]
	v_mov_b32_e32 v72, v4
	v_add_co_u32_e32 v32, vcc, v90, v5
	v_add_co_u32_e64 v34, s[2:3], v90, v6
	v_add_co_u32_e64 v36, s[4:5], v90, v7
	;; [unrolled: 1-line block ×3, first 2 shown]
	v_mov_b32_e32 v66, v7
	v_mov_b32_e32 v68, v6
	;; [unrolled: 1-line block ×3, first 2 shown]
	v_addc_co_u32_e64 v39, s[6:7], v91, v73, s[6:7]
	v_addc_co_u32_e32 v33, vcc, v91, v71, vcc
	v_addc_co_u32_e64 v35, vcc, v91, v69, s[2:3]
	v_addc_co_u32_e64 v37, vcc, v91, v67, s[4:5]
	v_lshlrev_b64 v[72:73], 1, v[72:73]
	v_lshlrev_b64 v[70:71], 1, v[70:71]
	;; [unrolled: 1-line block ×4, first 2 shown]
	v_add_co_u32_e32 v72, vcc, v79, v72
	v_add_co_u32_e64 v70, s[2:3], v79, v70
	v_add_co_u32_e64 v68, s[4:5], v79, v68
	;; [unrolled: 1-line block ×3, first 2 shown]
	v_addc_co_u32_e32 v73, vcc, v81, v73, vcc
	v_addc_co_u32_e64 v71, vcc, v81, v71, s[2:3]
	v_addc_co_u32_e64 v69, vcc, v81, v69, s[4:5]
	;; [unrolled: 1-line block ×3, first 2 shown]
	global_load_ushort v3, v[72:73], off
	global_load_ushort v10, v[70:71], off
	;; [unrolled: 1-line block ×4, first 2 shown]
	v_mov_b32_e32 v63, v11
	v_mov_b32_e32 v65, v11
	;; [unrolled: 1-line block ×16, first 2 shown]
	v_add_u32_e32 v92, -4, v92
	v_add_u32_e32 v7, 0x80, v7
	v_add_u32_e32 v6, 0x80, v6
	;; [unrolled: 1-line block ×4, first 2 shown]
	s_waitcnt vmcnt(3)
	v_lshlrev_b32_e32 v3, 16, v3
	s_waitcnt vmcnt(2)
	v_lshlrev_b32_e32 v10, 16, v10
	;; [unrolled: 2-line block ×4, first 2 shown]
	v_div_scale_f32 v48, s[2:3], s90, s90, v44
	v_div_scale_f32 v52, s[2:3], s88, s88, v40
	v_rcp_f32_e32 v64, v48
	v_div_scale_f32 v56, s[2:3], s81, s81, v10
	v_rcp_f32_e32 v66, v52
	;; [unrolled: 2-line block ×3, first 2 shown]
	v_rcp_f32_e32 v42, v60
	v_fma_f32 v46, -v48, v64, 1.0
	v_div_scale_f32 v50, vcc, v44, s90, v44
	v_fma_f32 v68, -v52, v66, 1.0
	v_fmac_f32_e32 v64, v46, v64
	v_div_scale_f32 v54, s[6:7], v40, s88, v40
	v_fma_f32 v69, -v56, v67, 1.0
	v_fmac_f32_e32 v66, v68, v66
	v_mul_f32_e32 v68, v50, v64
	v_div_scale_f32 v58, s[2:3], v10, s81, v10
	v_fma_f32 v70, -v60, v42, 1.0
	v_fmac_f32_e32 v67, v69, v67
	v_mul_f32_e32 v69, v54, v66
	v_fma_f32 v71, -v48, v68, v50
	v_div_scale_f32 v62, s[4:5], v3, s95, v3
	v_fmac_f32_e32 v42, v70, v42
	v_mul_f32_e32 v70, v58, v67
	v_fma_f32 v72, -v52, v69, v54
	v_fmac_f32_e32 v68, v71, v64
	v_mul_f32_e32 v46, v62, v42
	v_fma_f32 v71, -v56, v70, v58
	v_fmac_f32_e32 v69, v72, v66
	v_fma_f32 v50, -v48, v68, v50
	v_fma_f32 v72, -v60, v46, v62
	v_fmac_f32_e32 v70, v71, v67
	v_fma_f32 v52, -v52, v69, v54
	v_div_fmas_f32 v50, v50, v64, v68
	s_mov_b64 vcc, s[6:7]
	v_fmac_f32_e32 v46, v72, v42
	v_fma_f32 v54, -v56, v70, v58
	v_div_fmas_f32 v52, v52, v66, v69
	s_mov_b64 vcc, s[2:3]
	v_div_fixup_f32 v44, v50, s90, v44
	v_fma_f32 v48, -v60, v46, v62
	v_div_fmas_f32 v54, v54, v67, v70
	v_div_fixup_f32 v40, v52, s88, v40
	v_bfe_u32 v50, v44, 23, 8
	v_and_b32_e32 v62, 0x7f800000, v44
	v_and_b32_e32 v64, 0x7fffffff, v44
	s_mov_b64 vcc, s[4:5]
	v_and_b32_e32 v52, 0x7fffff, v44
	v_div_fixup_f32 v10, v54, s81, v10
	v_div_fmas_f32 v42, v48, v42, v46
	v_bfe_u32 v48, v40, 23, 8
	v_cmp_ne_u64_e32 vcc, s[62:63], v[62:63]
	v_and_b32_e32 v58, 0x7f800000, v40
	v_and_b32_e32 v60, 0x7fffffff, v40
	v_cmp_lt_u64_e64 s[4:5], s[68:69], v[64:65]
	v_cmp_gt_u64_e64 s[10:11], s[64:65], v[64:65]
	v_sub_u32_e32 v64, 0x79, v50
	v_cmp_gt_u32_e64 s[20:21], s59, v50
	v_and_b32_sdwa v93, v44, s58 dst_sel:DWORD dst_unused:UNUSED_PAD src0_sel:BYTE_3 src1_sel:DWORD
	v_cmp_eq_u32_e64 s[6:7], 0, v44
	v_cmp_ne_u32_e64 s[8:9], 0, v44
	v_and_b32_e32 v46, 0x7fffff, v40
	v_add_u32_e32 v63, 0xffffff81, v50
	v_cmp_eq_u32_e64 s[16:17], 0, v50
	v_or_b32_e32 v65, 0x800000, v52
	v_cmp_eq_u64_e64 s[18:19], 0, v[52:53]
	v_div_fixup_f32 v53, v42, s95, v3
	v_bfe_u32 v66, v10, 23, 8
	v_cmp_ne_u64_e64 s[22:23], s[62:63], v[58:59]
	v_and_b32_e32 v54, 0x7f800000, v10
	v_and_b32_e32 v56, 0x7fffffff, v10
	v_cmp_lt_u64_e64 s[24:25], s[68:69], v[60:61]
	v_cmp_gt_u64_e64 s[26:27], s[64:65], v[60:61]
	s_and_b64 s[44:45], vcc, s[10:11]
	v_sub_u32_e32 v60, 0x79, v48
	v_cndmask_b32_e64 v61, 0, v64, s[20:21]
	s_and_b64 s[46:47], vcc, s[4:5]
	v_cmp_gt_u32_e64 s[4:5], s59, v48
	v_or_b32_sdwa v44, v44, s40 dst_sel:DWORD dst_unused:UNUSED_PAD src0_sel:BYTE_3 src1_sel:DWORD
	v_and_b32_sdwa v94, v40, s58 dst_sel:DWORD dst_unused:UNUSED_PAD src0_sel:BYTE_3 src1_sel:DWORD
	v_or_b32_e32 v62, 0x7e, v93
	v_cmp_eq_u32_e64 s[12:13], 0, v40
	v_cmp_ne_u32_e64 s[14:15], 0, v40
	v_and_b32_e32 v42, 0x7fffff, v10
	v_add_u32_e32 v59, 0xffffff81, v48
	v_cmp_eq_u32_e64 s[30:31], 0, v48
	v_or_b32_e32 v64, 0x800000, v46
	v_cndmask_b32_e64 v63, v63, v88, s[16:17]
	v_cndmask_b32_e64 v74, v65, v52, s[16:17]
	v_cmp_eq_u64_e32 vcc, 0, v[46:47]
	v_bfe_u32 v47, v53, 23, 8
	v_and_b32_e32 v48, 0x7f800000, v53
	v_cmp_ne_u64_e64 s[20:21], s[62:63], v[54:55]
	v_and_b32_e32 v50, 0x7fffffff, v53
	v_cmp_lt_u64_e64 s[34:35], s[68:69], v[56:57]
	v_cmp_gt_u64_e64 s[36:37], s[64:65], v[56:57]
	s_and_b64 s[92:93], s[22:23], s[26:27]
	s_and_b64 s[78:79], s[44:45], s[8:9]
	v_add_u32_e32 v54, 0xffffff81, v66
	v_cmp_eq_u32_e64 s[8:9], 0, v66
	v_sub_u32_e32 v55, 0x79, v66
	v_cndmask_b32_e64 v56, 0, v60, s[4:5]
	v_cndmask_b32_e64 v61, v61, v89, s[16:17]
	s_and_b64 s[82:83], s[22:23], s[24:25]
	s_or_b64 s[16:17], s[46:47], s[18:19]
	s_and_b64 s[44:45], s[44:45], s[6:7]
	v_cmp_gt_u32_e64 s[6:7], s59, v66
	v_or_b32_sdwa v40, v40, s40 dst_sel:DWORD dst_unused:UNUSED_PAD src0_sel:BYTE_3 src1_sel:DWORD
	v_and_b32_sdwa v3, v10, s58 dst_sel:DWORD dst_unused:UNUSED_PAD src0_sel:BYTE_3 src1_sel:DWORD
	v_or_b32_e32 v58, 0x7e, v94
	v_cmp_eq_u32_e64 s[10:11], 0, v10
	v_cmp_ne_u32_e64 s[28:29], 0, v10
	v_or_b32_sdwa v65, v10, s40 dst_sel:DWORD dst_unused:UNUSED_PAD src0_sel:BYTE_3 src1_sel:DWORD
	v_and_b32_e32 v10, 0x7fffff, v53
	v_or_b32_e32 v57, 0x800000, v42
	v_cndmask_b32_e64 v60, v59, v88, s[30:31]
	v_cndmask_b32_e64 v70, v64, v46, s[30:31]
	v_cmp_eq_u64_e64 s[4:5], 0, v[42:43]
	v_cndmask_b32_e64 v46, v44, v62, s[16:17]
	v_cmp_ne_u64_e64 s[16:17], s[62:63], v[48:49]
	v_cmp_lt_u64_e64 s[18:19], s[68:69], v[50:51]
	v_cmp_gt_u64_e64 s[22:23], s[64:65], v[50:51]
	s_and_b64 s[24:25], s[92:93], s[14:15]
	v_add_u32_e32 v48, 0xffffff81, v47
	v_cmp_eq_u32_e64 s[14:15], 0, v47
	v_sub_u32_e32 v49, 0x79, v47
	v_cndmask_b32_e64 v50, 0, v55, s[6:7]
	v_cndmask_b32_e64 v66, v54, v88, s[8:9]
	;; [unrolled: 1-line block ×3, first 2 shown]
	v_add_u32_e32 v54, 20, v61
	s_and_b64 s[30:31], s[20:21], s[34:35]
	s_or_b64 vcc, s[82:83], vcc
	s_and_b64 s[34:35], s[92:93], s[12:13]
	v_cmp_gt_u32_e64 s[12:13], s59, v47
	v_mov_b32_e32 v71, v11
	v_and_b32_sdwa v52, v53, s58 dst_sel:DWORD dst_unused:UNUSED_PAD src0_sel:BYTE_3 src1_sel:DWORD
	v_or_b32_e32 v68, 0x7e, v3
	s_and_b64 s[36:37], s[20:21], s[36:37]
	v_or_b32_e32 v51, 0x800000, v10
	v_cndmask_b32_e64 v44, v57, v42, s[8:9]
	v_lshrrev_b64 v[42:43], v61, v[74:75]
	v_cmp_eq_u64_e64 s[6:7], 0, v[10:11]
	v_cndmask_b32_e32 v56, v40, v58, vcc
	v_cndmask_b32_e64 v57, 0, v49, s[12:13]
	v_cndmask_b32_e64 v75, v48, v88, s[14:15]
	;; [unrolled: 1-line block ×3, first 2 shown]
	v_add_u32_e32 v50, 20, v72
	v_lshlrev_b64 v[48:49], v54, -1
	s_and_b64 s[8:9], s[16:17], s[18:19]
	s_or_b64 vcc, s[30:31], s[4:5]
	v_cmp_eq_u32_e64 s[26:27], 0, v53
	v_cmp_ne_u32_e64 s[38:39], 0, v53
	v_or_b32_sdwa v64, v53, s40 dst_sel:DWORD dst_unused:UNUSED_PAD src0_sel:BYTE_3 src1_sel:DWORD
	v_or_b32_e32 v62, 0x7e, v52
	v_add_u32_e32 v55, 19, v61
	v_cndmask_b32_e64 v53, v46, 0, s[44:45]
	v_cndmask_b32_e64 v40, v51, v10, s[14:15]
	v_lshrrev_b64 v[46:47], v72, v[70:71]
	v_lshrrev_b32_e32 v51, 23, v42
	s_and_b64 s[4:5], s[36:37], s[10:11]
	v_cndmask_b32_e32 v65, v65, v68, vcc
	v_cndmask_b32_e64 v10, v56, 0, s[34:35]
	v_cndmask_b32_e64 v96, v57, v89, s[14:15]
	v_lshlrev_b64 v[56:57], v50, -1
	v_not_b32_e32 v48, v48
	s_or_b64 vcc, s[8:9], s[6:7]
	s_and_b64 s[22:23], s[16:17], s[22:23]
	v_add_u32_e32 v49, 19, v72
	v_lshlrev_b64 v[54:55], v55, 1
	v_bfe_u32 v71, v42, 20, 1
	v_add_u32_e32 v68, 20, v95
	v_add_u32_e32 v97, 19, v95
	v_add3_u32 v61, v61, v63, v51
	v_lshrrev_b64 v[50:51], v95, v[44:45]
	v_and_b32_e32 v76, v74, v48
	v_lshrrev_b32_e32 v63, 23, v46
	v_cndmask_b32_e32 v62, v64, v62, vcc
	v_cndmask_b32_e64 v45, v65, 0, s[4:5]
	v_add_u32_e32 v64, 20, v96
	v_not_b32_e32 v65, v56
	v_lshlrev_b64 v[58:59], v49, 1
	v_bfe_u32 v74, v46, 20, 1
	v_add_u32_e32 v71, -1, v71
	s_and_b64 s[6:7], s[22:23], s[26:27]
	v_lshlrev_b64 v[56:57], v68, -1
	v_cmp_eq_u64_e32 vcc, v[76:77], v[54:55]
	v_lshlrev_b64 v[54:55], v97, 1
	v_add3_u32 v63, v72, v60, v63
	v_lshrrev_b32_e32 v68, 23, v50
	v_add_u32_e32 v76, 6, v61
	v_add_u32_e32 v97, 7, v61
	v_and_b32_e32 v72, v70, v65
	v_lshlrev_b64 v[60:61], v64, -1
	v_lshrrev_b64 v[48:49], v96, v[40:41]
	v_add_u32_e32 v74, -1, v74
	v_cndmask_b32_e64 v41, v62, 0, s[6:7]
	v_not_b32_e32 v61, v56
	v_add3_u32 v64, v95, v66, v68
	v_cndmask_b32_e32 v71, 0, v71, vcc
	v_cmp_eq_u64_e64 s[6:7], v[72:73], v[58:59]
	v_mov_b32_e32 v69, v11
	v_add_u32_e32 v65, 6, v63
	v_cmp_ne_u32_e64 s[4:5], 0, v76
	v_and_b32_e32 v68, v44, v61
	v_add_u32_e32 v61, 6, v64
	v_add_u32_e32 v58, 7, v64
	v_cndmask_b32_e64 v59, 0, v74, s[6:7]
	v_add_u32_e32 v64, v71, v42
	s_and_b64 s[20:21], s[36:37], s[28:29]
	v_add_u32_e32 v57, 19, v96
	v_bfe_u32 v77, v50, 20, 1
	v_lshrrev_b32_e32 v62, 23, v48
	v_bfe_u32 v66, v48, 20, 1
	v_not_b32_e32 v60, v60
	v_cmp_ne_u32_e64 s[8:9], 0, v65
	s_and_b64 vcc, s[78:79], s[4:5]
	v_cmp_eq_u64_e64 s[4:5], v[68:69], v[54:55]
	v_cmp_ne_u32_e64 s[10:11], 0, v61
	v_add_u32_e32 v55, v59, v46
	v_and_b32_e32 v59, 0xfffff, v64
	v_mov_b32_e32 v67, v11
	v_lshlrev_b64 v[56:57], v57, 1
	v_add_u32_e32 v70, -1, v77
	v_add3_u32 v44, v96, v75, v62
	v_add_u32_e32 v62, -1, v66
	v_and_b32_e32 v66, v40, v60
	s_and_b64 s[6:7], s[24:25], s[8:9]
	s_and_b64 s[8:9], s[20:21], s[10:11]
	v_add_co_u32_e64 v42, s[10:11], v59, v42
	v_cndmask_b32_e64 v54, 0, v70, s[4:5]
	v_cmp_eq_u64_e64 s[4:5], v[66:67], v[56:57]
	v_and_b32_e32 v55, 0xfffff, v55
	v_addc_co_u32_e64 v43, s[10:11], 0, v43, s[10:11]
	v_add_u32_e32 v40, 6, v44
	v_cndmask_b32_e64 v56, 0, v62, s[4:5]
	v_add_u32_e32 v54, v54, v50
	v_add_co_u32_e64 v46, s[10:11], v55, v46
	s_and_b64 s[16:17], s[22:23], s[38:39]
	v_cmp_ne_u32_e64 s[12:13], 0, v40
	v_add_u32_e32 v56, v56, v48
	v_and_b32_e32 v54, 0xfffff, v54
	v_addc_co_u32_e64 v47, s[10:11], 0, v47, s[10:11]
	s_and_b64 s[4:5], s[16:17], s[12:13]
	v_cmp_lt_u64_e64 s[10:11], s[66:67], v[42:43]
	v_and_b32_e32 v56, 0xfffff, v56
	v_add_co_u32_e64 v50, s[12:13], v54, v50
	v_bfe_u32 v55, v42, 23, 1
	v_cndmask_b32_e64 v57, v76, v97, s[10:11]
	v_addc_co_u32_e64 v51, s[12:13], 0, v51, s[12:13]
	s_and_b64 s[14:15], vcc, s[10:11]
	v_add_co_u32_e64 v48, s[10:11], v56, v48
	v_add_u32_e32 v63, 7, v63
	v_cmp_lt_u64_e64 s[12:13], s[66:67], v[46:47]
	v_cndmask_b32_e32 v55, v55, v57, vcc
	v_addc_co_u32_e64 v49, vcc, 0, v49, s[10:11]
	v_bfe_u32 v54, v46, 23, 1
	v_cndmask_b32_e64 v59, v65, v63, s[12:13]
	v_cndmask_b32_e64 v57, 0, 1, s[14:15]
	v_cmp_lt_u64_e32 vcc, s[66:67], v[50:51]
	s_and_b64 s[10:11], s[6:7], s[12:13]
	v_cndmask_b32_e64 v54, v54, v59, s[6:7]
	v_cndmask_b32_e64 v59, 0, 1, s[10:11]
	v_lshrrev_b64 v[42:43], v57, v[42:43]
	v_cmp_lt_u64_e64 s[10:11], s[66:67], v[48:49]
	s_and_b64 s[12:13], s[8:9], vcc
	v_add_u32_e32 v44, 7, v44
	v_bfe_u32 v56, v50, 23, 1
	v_cndmask_b32_e32 v58, v61, v58, vcc
	v_cmp_eq_u32_e64 s[6:7], 0, v55
	v_min_i32_e32 v57, 15, v55
	v_cmp_gt_i32_e32 vcc, 16, v55
	v_cndmask_b32_e64 v55, 0, 1, s[12:13]
	v_lshrrev_b64 v[46:47], v59, v[46:47]
	v_lshrrev_b64 v[42:43], 20, v[42:43]
	s_and_b64 s[12:13], s[4:5], s[10:11]
	v_bfe_u32 v60, v48, 23, 1
	v_cndmask_b32_e64 v40, v40, v44, s[10:11]
	v_cndmask_b32_e64 v44, v56, v58, s[8:9]
	v_cmp_eq_u32_e64 s[8:9], 0, v54
	v_min_i32_e32 v56, 15, v54
	v_cmp_gt_i32_e64 s[10:11], 16, v54
	v_cndmask_b32_e64 v54, 0, 1, s[12:13]
	v_lshrrev_b64 v[50:51], v55, v[50:51]
	v_lshrrev_b64 v[46:47], 20, v[46:47]
	v_cndmask_b32_e32 v43, 0, v43, vcc
	v_cndmask_b32_e32 v42, 7, v42, vcc
	v_lshl_or_b32 v57, v57, 3, v93
	v_cndmask_b32_e64 v40, v60, v40, s[4:5]
	v_min_i32_e32 v55, 15, v44
	v_cmp_gt_i32_e64 s[4:5], 16, v44
	v_lshrrev_b64 v[48:49], v54, v[48:49]
	v_lshrrev_b64 v[50:51], 20, v[50:51]
	v_cndmask_b32_e64 v47, 0, v47, s[10:11]
	v_cndmask_b32_e64 v46, 7, v46, s[10:11]
	v_cmp_eq_u64_e64 s[12:13], 0, v[42:43]
	v_lshl_or_b32 v54, v55, 3, v3
	v_and_or_b32 v55, v42, 7, v57
	v_cmp_gt_i32_e64 s[14:15], 16, v40
	v_lshrrev_b64 v[42:43], 20, v[48:49]
	v_cndmask_b32_e64 v49, 0, v51, s[4:5]
	v_cndmask_b32_e64 v48, 7, v50, s[4:5]
	v_cmp_eq_u64_e64 s[4:5], 0, v[46:47]
	s_and_b64 s[12:13], s[6:7], s[12:13]
	v_cmp_eq_u32_e32 vcc, 0, v44
	v_min_i32_e32 v44, 15, v40
	v_cndmask_b32_e64 v43, 0, v43, s[14:15]
	v_cndmask_b32_e64 v42, 7, v42, s[14:15]
	v_cmp_eq_u64_e64 s[6:7], 0, v[48:49]
	s_and_b64 s[8:9], s[8:9], s[4:5]
	s_xor_b64 s[14:15], s[12:13], -1
	s_and_b64 s[4:5], s[78:79], s[12:13]
	v_lshl_or_b32 v56, v56, 3, v94
	v_cmp_eq_u32_e64 s[10:11], 0, v40
	v_lshl_or_b32 v40, v44, 3, v52
	v_cndmask_b32_e64 v47, v53, v93, s[4:5]
	v_cmp_eq_u64_e64 s[4:5], 0, v[42:43]
	s_and_b64 s[12:13], vcc, s[6:7]
	s_xor_b64 s[18:19], s[8:9], -1
	s_and_b64 vcc, s[24:25], s[8:9]
	s_and_b64 s[6:7], s[78:79], s[14:15]
	v_and_or_b32 v44, v46, 7, v56
	v_and_or_b32 v40, v42, 7, v40
	v_cndmask_b32_e32 v10, v10, v94, vcc
	v_cndmask_b32_e64 v42, v47, v55, s[6:7]
	s_and_b64 s[6:7], s[10:11], s[4:5]
	s_xor_b64 s[8:9], s[12:13], -1
	s_and_b64 vcc, s[20:21], s[12:13]
	s_and_b64 s[4:5], s[24:25], s[18:19]
	v_and_or_b32 v46, v48, 7, v54
	v_cndmask_b32_e32 v3, v45, v3, vcc
	v_cndmask_b32_e64 v10, v10, v44, s[4:5]
	s_and_b64 s[4:5], s[20:21], s[8:9]
	s_xor_b64 s[10:11], s[6:7], -1
	s_and_b64 vcc, s[16:17], s[6:7]
	v_cndmask_b32_e64 v3, v3, v46, s[4:5]
	v_cmp_eq_u32_e64 s[2:3], 0, v92
	v_lshlrev_b16_e32 v42, 8, v42
	v_cndmask_b32_e32 v41, v41, v52, vcc
	s_and_b64 vcc, s[16:17], s[10:11]
	v_lshlrev_b16_e32 v3, 8, v3
	v_or_b32_sdwa v10, v10, v42 dst_sel:DWORD dst_unused:UNUSED_PAD src0_sel:BYTE_0 src1_sel:DWORD
	v_cndmask_b32_e32 v40, v41, v40, vcc
	s_or_b64 s[76:77], s[2:3], s[76:77]
	v_lshrrev_b32_e32 v3, 8, v3
	v_lshrrev_b32_e32 v41, 8, v10
	global_store_byte v[38:39], v40, off
	global_store_byte v[32:33], v3, off
	;; [unrolled: 1-line block ×4, first 2 shown]
	s_andn2_b64 exec, exec, s[76:77]
	s_cbranch_execnz .LBB19_162
; %bb.163:                              ;   in Loop: Header=BB19_9 Depth=1
	s_or_b64 exec, exec, s[76:77]
	v_cmp_ne_u32_e32 vcc, v78, v80
	v_lshl_add_u32 v2, v80, 5, v2
	s_orn2_b64 s[2:3], vcc, exec
	s_mov_b32 s92, s91
	s_mov_b32 s93, s94
	v_readlane_b32 s34, v99, 1
	v_readlane_b32 s35, v99, 2
	s_mul_i32 s20, s57, s84
	s_movk_i32 s21, 0x5f
.LBB19_164:                             ;   in Loop: Header=BB19_9 Depth=1
	s_or_b64 exec, exec, s[74:75]
	s_and_b64 exec, exec, s[2:3]
	s_cbranch_execz .LBB19_183
; %bb.165:                              ;   in Loop: Header=BB19_9 Depth=1
	v_ashrrev_i32_e32 v3, 31, v2
	v_lshlrev_b64 v[4:5], 1, v[2:3]
	v_add_co_u32_e32 v4, vcc, v30, v4
	v_addc_co_u32_e32 v5, vcc, v31, v5, vcc
	v_add_co_u32_e32 v4, vcc, v4, v22
	v_readlane_b32 s2, v99, 23
	v_addc_co_u32_e32 v5, vcc, v5, v23, vcc
	v_mov_b32_e32 v6, s2
	v_readlane_b32 s2, v99, 24
	v_add_co_u32_e32 v4, vcc, s2, v4
	v_addc_co_u32_e32 v5, vcc, v6, v5, vcc
	v_add_co_u32_e32 v6, vcc, v28, v2
	v_addc_co_u32_e32 v3, vcc, v29, v3, vcc
	;; [unrolled: 2-line block ×3, first 2 shown]
	s_mov_b64 s[4:5], 0
	s_branch .LBB19_167
.LBB19_166:                             ;   in Loop: Header=BB19_167 Depth=2
	s_or_b64 exec, exec, s[2:3]
	v_add_co_u32_e32 v4, vcc, 64, v4
	v_add_u32_e32 v2, 32, v2
	v_addc_co_u32_e32 v5, vcc, 0, v5, vcc
	v_cmp_ge_i32_e32 vcc, v2, v25
	global_store_byte v[6:7], v29, off
	s_or_b64 s[4:5], vcc, s[4:5]
	v_add_co_u32_e32 v6, vcc, 32, v6
	v_addc_co_u32_e32 v7, vcc, 0, v7, vcc
	s_andn2_b64 exec, exec, s[4:5]
	s_cbranch_execz .LBB19_183
.LBB19_167:                             ;   Parent Loop BB19_9 Depth=1
                                        ; =>  This Inner Loop Header: Depth=2
	global_load_ushort v3, v[4:5], off
	v_mov_b32_e32 v31, v11
	s_waitcnt vmcnt(0)
	v_lshlrev_b32_e32 v3, 16, v3
	v_div_scale_f32 v10, s[2:3], s95, s95, v3
	v_rcp_f32_e32 v28, v10
	v_div_scale_f32 v29, vcc, v3, s95, v3
	v_fma_f32 v30, -v10, v28, 1.0
	v_fmac_f32_e32 v28, v30, v28
	v_mul_f32_e32 v30, v29, v28
	v_fma_f32 v32, -v10, v30, v29
	v_fmac_f32_e32 v30, v32, v28
	v_fma_f32 v10, -v10, v30, v29
	v_div_fmas_f32 v10, v10, v28, v30
	v_div_fixup_f32 v28, v10, s95, v3
	v_and_b32_sdwa v3, v28, s58 dst_sel:DWORD dst_unused:UNUSED_PAD src0_sel:BYTE_3 src1_sel:DWORD
	v_and_b32_e32 v30, 0x7f800000, v28
	v_and_b32_e32 v10, 0x7fffff, v28
	v_or_b32_e32 v29, 0x7e, v3
	v_cmp_ne_u64_e32 vcc, s[62:63], v[30:31]
	s_and_saveexec_b64 s[2:3], vcc
	s_xor_b64 s[6:7], exec, s[2:3]
	s_cbranch_execz .LBB19_181
; %bb.168:                              ;   in Loop: Header=BB19_167 Depth=2
	v_and_b32_e32 v30, 0x7fffffff, v28
	v_mov_b32_e32 v31, v11
	v_cmp_gt_u64_e32 vcc, s[64:65], v[30:31]
	s_and_saveexec_b64 s[2:3], vcc
	s_xor_b64 s[8:9], exec, s[2:3]
	s_cbranch_execz .LBB19_180
; %bb.169:                              ;   in Loop: Header=BB19_167 Depth=2
	v_cmp_ne_u32_e32 vcc, 0, v28
	v_mov_b32_e32 v29, 0
	s_and_saveexec_b64 s[10:11], vcc
	s_cbranch_execz .LBB19_179
; %bb.170:                              ;   in Loop: Header=BB19_167 Depth=2
	v_bfe_u32 v28, v28, 23, 8
	v_sub_u32_e32 v30, 0x79, v28
	v_cmp_gt_u32_e32 vcc, s59, v28
	v_cndmask_b32_e32 v30, 0, v30, vcc
	v_cmp_eq_u32_e32 vcc, 0, v28
	v_cndmask_b32_e32 v30, v30, v89, vcc
	v_add_u32_e32 v29, 0xffffff81, v28
	v_or_b32_e32 v31, 0x800000, v10
	v_add_u32_e32 v28, 20, v30
	v_cndmask_b32_e32 v36, v29, v88, vcc
	v_cndmask_b32_e32 v10, v31, v10, vcc
	v_lshlrev_b64 v[28:29], v28, -1
	v_not_b32_e32 v28, v28
	v_lshrrev_b64 v[34:35], v30, v[10:11]
	v_not_b32_e32 v29, v29
	v_and_b32_e32 v28, v10, v28
	v_add_u32_e32 v31, 19, v30
	v_lshrrev_b32_e32 v10, 23, v34
	v_and_b32_e32 v29, 0, v29
	v_lshlrev_b64 v[32:33], v31, 1
	v_add3_u32 v31, v30, v36, v10
	v_bfe_u32 v10, v34, 20, 1
	v_add_u32_e32 v10, -1, v10
	v_cmp_eq_u64_e32 vcc, v[28:29], v[32:33]
	v_cndmask_b32_e32 v10, 0, v10, vcc
	v_add_u32_e32 v10, v10, v34
	v_and_b32_e32 v10, 0xfffff, v10
	v_add_co_u32_e32 v28, vcc, v10, v34
	v_add_u32_e32 v30, 6, v31
	v_addc_co_u32_e32 v29, vcc, 0, v35, vcc
	v_cmp_ne_u32_e32 vcc, 0, v30
                                        ; implicit-def: $vgpr10
	s_and_saveexec_b64 s[2:3], vcc
	s_xor_b64 s[2:3], exec, s[2:3]
; %bb.171:                              ;   in Loop: Header=BB19_167 Depth=2
	v_add_u32_e32 v10, 7, v31
	v_cmp_lt_u64_e32 vcc, s[66:67], v[28:29]
	v_cndmask_b32_e32 v10, v30, v10, vcc
	v_cndmask_b32_e64 v30, 0, 1, vcc
	v_lshrrev_b64 v[28:29], v30, v[28:29]
; %bb.172:                              ;   in Loop: Header=BB19_167 Depth=2
	s_andn2_saveexec_b64 s[2:3], s[2:3]
; %bb.173:                              ;   in Loop: Header=BB19_167 Depth=2
	v_bfe_u32 v10, v28, 23, 1
; %bb.174:                              ;   in Loop: Header=BB19_167 Depth=2
	s_or_b64 exec, exec, s[2:3]
	v_lshrrev_b64 v[28:29], 20, v[28:29]
	v_cmp_gt_i32_e32 vcc, 16, v10
	v_cndmask_b32_e32 v29, 0, v29, vcc
	v_cndmask_b32_e32 v28, 7, v28, vcc
	v_cmp_ne_u32_e32 vcc, 0, v10
	v_cmp_ne_u64_e64 s[2:3], 0, v[28:29]
	s_or_b64 s[2:3], vcc, s[2:3]
                                        ; implicit-def: $vgpr29
	s_and_saveexec_b64 s[12:13], s[2:3]
	s_xor_b64 s[2:3], exec, s[12:13]
; %bb.175:                              ;   in Loop: Header=BB19_167 Depth=2
	v_min_i32_e32 v10, 15, v10
	v_lshl_or_b32 v3, v10, 3, v3
	v_and_or_b32 v29, v28, 7, v3
                                        ; implicit-def: $vgpr3
; %bb.176:                              ;   in Loop: Header=BB19_167 Depth=2
	s_andn2_saveexec_b64 s[2:3], s[2:3]
; %bb.177:                              ;   in Loop: Header=BB19_167 Depth=2
	v_mov_b32_e32 v29, v3
; %bb.178:                              ;   in Loop: Header=BB19_167 Depth=2
	s_or_b64 exec, exec, s[2:3]
.LBB19_179:                             ;   in Loop: Header=BB19_167 Depth=2
	s_or_b64 exec, exec, s[10:11]
.LBB19_180:                             ;   in Loop: Header=BB19_167 Depth=2
	s_andn2_saveexec_b64 s[2:3], s[8:9]
	s_or_b64 exec, exec, s[2:3]
                                        ; implicit-def: $vgpr28
.LBB19_181:                             ;   in Loop: Header=BB19_167 Depth=2
	s_andn2_saveexec_b64 s[2:3], s[6:7]
	s_cbranch_execz .LBB19_166
; %bb.182:                              ;   in Loop: Header=BB19_167 Depth=2
	v_or_b32_sdwa v3, v28, s40 dst_sel:DWORD dst_unused:UNUSED_PAD src0_sel:BYTE_3 src1_sel:DWORD
	v_cmp_eq_u64_e32 vcc, 0, v[10:11]
	v_cndmask_b32_e32 v29, v3, v29, vcc
	s_branch .LBB19_166
.LBB19_183:                             ;   in Loop: Header=BB19_9 Depth=1
	s_or_b64 exec, exec, s[72:73]
.LBB19_184:                             ;   in Loop: Header=BB19_9 Depth=1
	s_andn2_saveexec_b64 s[4:5], s[70:71]
	s_cbranch_execz .LBB19_317
; %bb.185:                              ;   in Loop: Header=BB19_9 Depth=1
	s_and_saveexec_b64 s[6:7], s[0:1]
	s_cbranch_execz .LBB19_316
; %bb.186:                              ;   in Loop: Header=BB19_9 Depth=1
	v_add_co_u32_e32 v6, vcc, v83, v22
	v_addc_co_u32_e32 v7, vcc, v84, v23, vcc
	s_mov_b64 s[8:9], 0
	v_pk_mov_b32 v[28:29], v[12:13], v[12:13] op_sel:[0,1]
	v_mov_b32_e32 v25, v8
	s_branch .LBB19_188
.LBB19_187:                             ;   in Loop: Header=BB19_188 Depth=2
	s_or_b64 exec, exec, s[2:3]
	v_lshlrev_b32_e32 v4, 16, v40
	v_lshlrev_b32_e32 v3, 24, v42
	v_and_b32_e32 v4, 0xff0000, v4
	v_or_b32_e32 v3, v3, v4
	v_lshlrev_b32_e32 v4, 8, v38
	v_and_b32_e32 v4, 0xff00, v4
	v_and_b32_e32 v5, 0xff, v36
	v_or3_b32 v3, v3, v4, v5
	v_lshlrev_b32_e32 v4, 16, v34
	v_lshlrev_b32_e32 v5, 8, v32
	v_perm_b32 v2, v2, v4, s42
	v_and_or_b32 v2, v5, s41, v2
	v_or_b32_sdwa v2, v2, v30 dst_sel:DWORD dst_unused:UNUSED_PAD src0_sel:DWORD src1_sel:BYTE_0
	global_store_dwordx2 v[28:29], v[2:3], off
	v_add_co_u32_e32 v28, vcc, 0x100, v28
	v_add_u32_e32 v25, 32, v25
	v_addc_co_u32_e32 v29, vcc, 0, v29, vcc
	v_add_co_u32_e32 v6, vcc, 0x200, v6
	v_cmp_le_i32_e64 s[2:3], s85, v25
	s_or_b64 s[8:9], s[2:3], s[8:9]
	v_addc_co_u32_e32 v7, vcc, 0, v7, vcc
	s_andn2_b64 exec, exec, s[8:9]
	s_cbranch_execz .LBB19_316
.LBB19_188:                             ;   Parent Loop BB19_9 Depth=1
                                        ; =>  This Inner Loop Header: Depth=2
	global_load_dwordx4 v[2:5], v[6:7], off
	v_mov_b32_e32 v35, v11
	s_waitcnt vmcnt(0)
	v_lshlrev_b32_e32 v10, 16, v2
	v_div_scale_f32 v30, s[2:3], s95, s95, v10
	v_rcp_f32_e32 v31, v30
	v_div_scale_f32 v32, vcc, v10, s95, v10
	v_fma_f32 v33, -v30, v31, 1.0
	v_fmac_f32_e32 v31, v33, v31
	v_mul_f32_e32 v33, v32, v31
	v_fma_f32 v34, -v30, v33, v32
	v_fmac_f32_e32 v33, v34, v31
	v_fma_f32 v30, -v30, v33, v32
	v_div_fmas_f32 v30, v30, v31, v33
	v_div_fixup_f32 v33, v30, s95, v10
	v_and_b32_sdwa v32, v33, s58 dst_sel:DWORD dst_unused:UNUSED_PAD src0_sel:BYTE_3 src1_sel:DWORD
	v_and_b32_e32 v34, 0x7f800000, v33
	v_and_b32_e32 v10, 0x7fffff, v33
	v_or_b32_e32 v30, 0x7e, v32
	v_cmp_ne_u64_e32 vcc, s[62:63], v[34:35]
	s_and_saveexec_b64 s[2:3], vcc
	s_xor_b64 s[10:11], exec, s[2:3]
	s_cbranch_execz .LBB19_202
; %bb.189:                              ;   in Loop: Header=BB19_188 Depth=2
	v_and_b32_e32 v34, 0x7fffffff, v33
	v_mov_b32_e32 v35, v11
	v_cmp_gt_u64_e32 vcc, s[64:65], v[34:35]
	s_and_saveexec_b64 s[2:3], vcc
	s_xor_b64 s[12:13], exec, s[2:3]
	s_cbranch_execz .LBB19_201
; %bb.190:                              ;   in Loop: Header=BB19_188 Depth=2
	v_cmp_ne_u32_e32 vcc, 0, v33
	v_pk_mov_b32 v[30:31], 0, 0
	s_and_saveexec_b64 s[14:15], vcc
	s_cbranch_execz .LBB19_200
; %bb.191:                              ;   in Loop: Header=BB19_188 Depth=2
	v_bfe_u32 v30, v33, 23, 8
	v_sub_u32_e32 v33, 0x79, v30
	v_cmp_gt_u32_e32 vcc, s59, v30
	v_cndmask_b32_e32 v33, 0, v33, vcc
	v_cmp_eq_u32_e32 vcc, 0, v30
	v_cndmask_b32_e32 v33, v33, v89, vcc
	v_add_u32_e32 v31, 0xffffff81, v30
	v_or_b32_e32 v34, 0x800000, v10
	v_add_u32_e32 v30, 20, v33
	v_cndmask_b32_e32 v35, v31, v88, vcc
	v_cndmask_b32_e32 v10, v34, v10, vcc
	v_lshlrev_b64 v[30:31], v30, -1
	v_not_b32_e32 v30, v30
	v_lshrrev_b64 v[38:39], v33, v[10:11]
	v_not_b32_e32 v31, v31
	v_and_b32_e32 v30, v10, v30
	v_add_u32_e32 v34, 19, v33
	v_lshrrev_b32_e32 v10, 23, v38
	v_and_b32_e32 v31, 0, v31
	v_lshlrev_b64 v[36:37], v34, 1
	v_add3_u32 v34, v33, v35, v10
	v_bfe_u32 v10, v38, 20, 1
	v_add_u32_e32 v10, -1, v10
	v_cmp_eq_u64_e32 vcc, v[30:31], v[36:37]
	v_cndmask_b32_e32 v10, 0, v10, vcc
	v_add_u32_e32 v10, v10, v38
	v_and_b32_e32 v10, 0xfffff, v10
	v_add_co_u32_e32 v30, vcc, v10, v38
	v_add_u32_e32 v33, 6, v34
	v_addc_co_u32_e32 v31, vcc, 0, v39, vcc
	v_cmp_ne_u32_e32 vcc, 0, v33
                                        ; implicit-def: $vgpr10
	s_and_saveexec_b64 s[2:3], vcc
	s_xor_b64 s[2:3], exec, s[2:3]
; %bb.192:                              ;   in Loop: Header=BB19_188 Depth=2
	v_add_u32_e32 v10, 7, v34
	v_cmp_lt_u64_e32 vcc, s[66:67], v[30:31]
	v_cndmask_b32_e32 v10, v33, v10, vcc
	v_cndmask_b32_e64 v33, 0, 1, vcc
	v_lshrrev_b64 v[30:31], v33, v[30:31]
; %bb.193:                              ;   in Loop: Header=BB19_188 Depth=2
	s_andn2_saveexec_b64 s[2:3], s[2:3]
; %bb.194:                              ;   in Loop: Header=BB19_188 Depth=2
	v_bfe_u32 v10, v30, 23, 1
; %bb.195:                              ;   in Loop: Header=BB19_188 Depth=2
	s_or_b64 exec, exec, s[2:3]
	v_lshrrev_b64 v[30:31], 20, v[30:31]
	v_cmp_gt_i32_e32 vcc, 16, v10
	v_cndmask_b32_e32 v35, 0, v31, vcc
	v_cndmask_b32_e32 v34, 7, v30, vcc
	v_cmp_ne_u32_e32 vcc, 0, v10
	v_cmp_ne_u64_e64 s[2:3], 0, v[34:35]
	s_or_b64 s[2:3], vcc, s[2:3]
                                        ; implicit-def: $vgpr30_vgpr31
	s_and_saveexec_b64 s[16:17], s[2:3]
	s_xor_b64 s[2:3], exec, s[16:17]
; %bb.196:                              ;   in Loop: Header=BB19_188 Depth=2
	v_min_i32_e32 v10, 15, v10
	v_lshl_or_b32 v10, v10, 3, v32
	v_and_or_b32 v30, v34, 7, v10
                                        ; implicit-def: $vgpr32
; %bb.197:                              ;   in Loop: Header=BB19_188 Depth=2
	s_andn2_saveexec_b64 s[2:3], s[2:3]
; %bb.198:                              ;   in Loop: Header=BB19_188 Depth=2
	v_pk_mov_b32 v[30:31], v[32:33], v[32:33] op_sel:[0,1]
; %bb.199:                              ;   in Loop: Header=BB19_188 Depth=2
	s_or_b64 exec, exec, s[2:3]
.LBB19_200:                             ;   in Loop: Header=BB19_188 Depth=2
	s_or_b64 exec, exec, s[14:15]
.LBB19_201:                             ;   in Loop: Header=BB19_188 Depth=2
	s_andn2_saveexec_b64 s[2:3], s[12:13]
	s_or_b64 exec, exec, s[2:3]
                                        ; implicit-def: $vgpr33
.LBB19_202:                             ;   in Loop: Header=BB19_188 Depth=2
	s_andn2_saveexec_b64 s[2:3], s[10:11]
; %bb.203:                              ;   in Loop: Header=BB19_188 Depth=2
	v_or_b32_sdwa v31, v33, s40 dst_sel:DWORD dst_unused:UNUSED_PAD src0_sel:BYTE_3 src1_sel:DWORD
	v_cmp_eq_u64_e32 vcc, 0, v[10:11]
	v_cndmask_b32_e32 v30, v31, v30, vcc
; %bb.204:                              ;   in Loop: Header=BB19_188 Depth=2
	s_or_b64 exec, exec, s[2:3]
	v_and_b32_e32 v2, 0xffff0000, v2
	v_div_scale_f32 v10, s[2:3], s95, s95, v2
	v_rcp_f32_e32 v31, v10
	v_div_scale_f32 v32, vcc, v2, s95, v2
	v_mov_b32_e32 v35, v11
	v_fma_f32 v33, -v10, v31, 1.0
	v_fmac_f32_e32 v31, v33, v31
	v_mul_f32_e32 v33, v32, v31
	v_fma_f32 v34, -v10, v33, v32
	v_fmac_f32_e32 v33, v34, v31
	v_fma_f32 v10, -v10, v33, v32
	v_div_fmas_f32 v10, v10, v31, v33
	v_div_fixup_f32 v31, v10, s95, v2
	v_and_b32_sdwa v2, v31, s58 dst_sel:DWORD dst_unused:UNUSED_PAD src0_sel:BYTE_3 src1_sel:DWORD
	v_and_b32_e32 v34, 0x7f800000, v31
	v_and_b32_e32 v10, 0x7fffff, v31
	v_or_b32_e32 v32, 0x7e, v2
	v_cmp_ne_u64_e32 vcc, s[62:63], v[34:35]
	s_and_saveexec_b64 s[2:3], vcc
	s_xor_b64 s[10:11], exec, s[2:3]
	s_cbranch_execz .LBB19_218
; %bb.205:                              ;   in Loop: Header=BB19_188 Depth=2
	v_and_b32_e32 v34, 0x7fffffff, v31
	v_mov_b32_e32 v35, v11
	v_cmp_gt_u64_e32 vcc, s[64:65], v[34:35]
	s_and_saveexec_b64 s[2:3], vcc
	s_xor_b64 s[12:13], exec, s[2:3]
	s_cbranch_execz .LBB19_217
; %bb.206:                              ;   in Loop: Header=BB19_188 Depth=2
	v_cmp_ne_u32_e32 vcc, 0, v31
	v_pk_mov_b32 v[32:33], 0, 0
	s_and_saveexec_b64 s[14:15], vcc
	s_cbranch_execz .LBB19_216
; %bb.207:                              ;   in Loop: Header=BB19_188 Depth=2
	v_bfe_u32 v31, v31, 23, 8
	v_sub_u32_e32 v33, 0x79, v31
	v_cmp_gt_u32_e32 vcc, s59, v31
	v_cndmask_b32_e32 v33, 0, v33, vcc
	v_cmp_eq_u32_e32 vcc, 0, v31
	v_add_u32_e32 v32, 0xffffff81, v31
	v_cndmask_b32_e32 v35, v33, v89, vcc
	v_or_b32_e32 v34, 0x800000, v10
	v_cndmask_b32_e32 v31, v32, v88, vcc
	v_add_u32_e32 v32, 20, v35
	v_cndmask_b32_e32 v10, v34, v10, vcc
	v_lshlrev_b64 v[32:33], v32, -1
	v_not_b32_e32 v32, v32
	v_lshrrev_b64 v[38:39], v35, v[10:11]
	v_not_b32_e32 v33, v33
	v_and_b32_e32 v32, v10, v32
	v_add_u32_e32 v34, 19, v35
	v_lshrrev_b32_e32 v10, 23, v38
	v_and_b32_e32 v33, 0, v33
	v_lshlrev_b64 v[36:37], v34, 1
	v_add3_u32 v34, v35, v31, v10
	v_bfe_u32 v10, v38, 20, 1
	v_add_u32_e32 v10, -1, v10
	v_cmp_eq_u64_e32 vcc, v[32:33], v[36:37]
	v_cndmask_b32_e32 v10, 0, v10, vcc
	v_add_u32_e32 v10, v10, v38
	v_and_b32_e32 v10, 0xfffff, v10
	v_add_co_u32_e32 v32, vcc, v10, v38
	v_add_u32_e32 v31, 6, v34
	v_addc_co_u32_e32 v33, vcc, 0, v39, vcc
	v_cmp_ne_u32_e32 vcc, 0, v31
                                        ; implicit-def: $vgpr10
	s_and_saveexec_b64 s[2:3], vcc
	s_xor_b64 s[2:3], exec, s[2:3]
; %bb.208:                              ;   in Loop: Header=BB19_188 Depth=2
	v_add_u32_e32 v10, 7, v34
	v_cmp_lt_u64_e32 vcc, s[66:67], v[32:33]
	v_cndmask_b32_e32 v10, v31, v10, vcc
	v_cndmask_b32_e64 v31, 0, 1, vcc
	v_lshrrev_b64 v[32:33], v31, v[32:33]
; %bb.209:                              ;   in Loop: Header=BB19_188 Depth=2
	s_andn2_saveexec_b64 s[2:3], s[2:3]
; %bb.210:                              ;   in Loop: Header=BB19_188 Depth=2
	v_bfe_u32 v10, v32, 23, 1
; %bb.211:                              ;   in Loop: Header=BB19_188 Depth=2
	s_or_b64 exec, exec, s[2:3]
	v_lshrrev_b64 v[32:33], 20, v[32:33]
	v_cmp_gt_i32_e32 vcc, 16, v10
	v_cndmask_b32_e32 v35, 0, v33, vcc
	v_cndmask_b32_e32 v34, 7, v32, vcc
	v_cmp_ne_u32_e32 vcc, 0, v10
	v_cmp_ne_u64_e64 s[2:3], 0, v[34:35]
	s_or_b64 s[2:3], vcc, s[2:3]
                                        ; implicit-def: $vgpr32_vgpr33
	s_and_saveexec_b64 s[16:17], s[2:3]
	s_xor_b64 s[2:3], exec, s[16:17]
; %bb.212:                              ;   in Loop: Header=BB19_188 Depth=2
	v_min_i32_e32 v10, 15, v10
	v_lshl_or_b32 v2, v10, 3, v2
	v_and_or_b32 v32, v34, 7, v2
                                        ; implicit-def: $vgpr2
; %bb.213:                              ;   in Loop: Header=BB19_188 Depth=2
	s_andn2_saveexec_b64 s[2:3], s[2:3]
; %bb.214:                              ;   in Loop: Header=BB19_188 Depth=2
	v_pk_mov_b32 v[32:33], v[2:3], v[2:3] op_sel:[0,1]
; %bb.215:                              ;   in Loop: Header=BB19_188 Depth=2
	s_or_b64 exec, exec, s[2:3]
.LBB19_216:                             ;   in Loop: Header=BB19_188 Depth=2
	s_or_b64 exec, exec, s[14:15]
.LBB19_217:                             ;   in Loop: Header=BB19_188 Depth=2
	s_andn2_saveexec_b64 s[2:3], s[12:13]
	s_or_b64 exec, exec, s[2:3]
                                        ; implicit-def: $vgpr31
.LBB19_218:                             ;   in Loop: Header=BB19_188 Depth=2
	s_andn2_saveexec_b64 s[2:3], s[10:11]
; %bb.219:                              ;   in Loop: Header=BB19_188 Depth=2
	v_or_b32_sdwa v2, v31, s40 dst_sel:DWORD dst_unused:UNUSED_PAD src0_sel:BYTE_3 src1_sel:DWORD
	v_cmp_eq_u64_e32 vcc, 0, v[10:11]
	v_cndmask_b32_e32 v32, v2, v32, vcc
; %bb.220:                              ;   in Loop: Header=BB19_188 Depth=2
	s_or_b64 exec, exec, s[2:3]
	v_lshlrev_b32_e32 v2, 16, v3
	v_div_scale_f32 v10, s[2:3], s95, s95, v2
	v_rcp_f32_e32 v31, v10
	v_div_scale_f32 v33, vcc, v2, s95, v2
	v_mov_b32_e32 v37, v11
	v_fma_f32 v34, -v10, v31, 1.0
	v_fmac_f32_e32 v31, v34, v31
	v_mul_f32_e32 v34, v33, v31
	v_fma_f32 v35, -v10, v34, v33
	v_fmac_f32_e32 v34, v35, v31
	v_fma_f32 v10, -v10, v34, v33
	v_div_fmas_f32 v10, v10, v31, v34
	v_div_fixup_f32 v31, v10, s95, v2
	v_and_b32_sdwa v2, v31, s58 dst_sel:DWORD dst_unused:UNUSED_PAD src0_sel:BYTE_3 src1_sel:DWORD
	v_and_b32_e32 v36, 0x7f800000, v31
	v_and_b32_e32 v10, 0x7fffff, v31
	v_or_b32_e32 v34, 0x7e, v2
	v_cmp_ne_u64_e32 vcc, s[62:63], v[36:37]
	s_and_saveexec_b64 s[2:3], vcc
	s_xor_b64 s[10:11], exec, s[2:3]
	s_cbranch_execz .LBB19_234
; %bb.221:                              ;   in Loop: Header=BB19_188 Depth=2
	v_and_b32_e32 v36, 0x7fffffff, v31
	v_mov_b32_e32 v37, v11
	v_cmp_gt_u64_e32 vcc, s[64:65], v[36:37]
	s_and_saveexec_b64 s[2:3], vcc
	s_xor_b64 s[12:13], exec, s[2:3]
	s_cbranch_execz .LBB19_233
; %bb.222:                              ;   in Loop: Header=BB19_188 Depth=2
	v_cmp_ne_u32_e32 vcc, 0, v31
	v_pk_mov_b32 v[34:35], 0, 0
	s_and_saveexec_b64 s[14:15], vcc
	s_cbranch_execz .LBB19_232
; %bb.223:                              ;   in Loop: Header=BB19_188 Depth=2
	v_bfe_u32 v31, v31, 23, 8
	v_sub_u32_e32 v34, 0x79, v31
	v_cmp_gt_u32_e32 vcc, s59, v31
	v_add_u32_e32 v33, 0xffffff81, v31
	v_cndmask_b32_e32 v34, 0, v34, vcc
	v_cmp_eq_u32_e32 vcc, 0, v31
	v_cndmask_b32_e32 v31, v33, v88, vcc
	v_cndmask_b32_e32 v33, v34, v89, vcc
	v_or_b32_e32 v35, 0x800000, v10
	v_add_u32_e32 v34, 20, v33
	v_cndmask_b32_e32 v10, v35, v10, vcc
	v_lshlrev_b64 v[34:35], v34, -1
	v_not_b32_e32 v34, v34
	v_lshrrev_b64 v[38:39], v33, v[10:11]
	v_not_b32_e32 v35, v35
	v_and_b32_e32 v34, v10, v34
	v_add_u32_e32 v36, 19, v33
	v_lshrrev_b32_e32 v10, 23, v38
	v_and_b32_e32 v35, 0, v35
	v_lshlrev_b64 v[36:37], v36, 1
	v_add3_u32 v33, v33, v31, v10
	v_bfe_u32 v10, v38, 20, 1
	v_add_u32_e32 v10, -1, v10
	v_cmp_eq_u64_e32 vcc, v[34:35], v[36:37]
	v_cndmask_b32_e32 v10, 0, v10, vcc
	v_add_u32_e32 v10, v10, v38
	v_and_b32_e32 v10, 0xfffff, v10
	v_add_co_u32_e32 v34, vcc, v10, v38
	v_add_u32_e32 v31, 6, v33
	v_addc_co_u32_e32 v35, vcc, 0, v39, vcc
	v_cmp_ne_u32_e32 vcc, 0, v31
                                        ; implicit-def: $vgpr10
	s_and_saveexec_b64 s[2:3], vcc
	s_xor_b64 s[2:3], exec, s[2:3]
; %bb.224:                              ;   in Loop: Header=BB19_188 Depth=2
	v_add_u32_e32 v10, 7, v33
	v_cmp_lt_u64_e32 vcc, s[66:67], v[34:35]
	v_cndmask_b32_e32 v10, v31, v10, vcc
	v_cndmask_b32_e64 v31, 0, 1, vcc
	v_lshrrev_b64 v[34:35], v31, v[34:35]
; %bb.225:                              ;   in Loop: Header=BB19_188 Depth=2
	s_andn2_saveexec_b64 s[2:3], s[2:3]
; %bb.226:                              ;   in Loop: Header=BB19_188 Depth=2
	v_bfe_u32 v10, v34, 23, 1
; %bb.227:                              ;   in Loop: Header=BB19_188 Depth=2
	s_or_b64 exec, exec, s[2:3]
	v_lshrrev_b64 v[34:35], 20, v[34:35]
	v_cmp_gt_i32_e32 vcc, 16, v10
	v_cndmask_b32_e32 v37, 0, v35, vcc
	v_cndmask_b32_e32 v36, 7, v34, vcc
	v_cmp_ne_u32_e32 vcc, 0, v10
	v_cmp_ne_u64_e64 s[2:3], 0, v[36:37]
	s_or_b64 s[2:3], vcc, s[2:3]
                                        ; implicit-def: $vgpr34_vgpr35
	s_and_saveexec_b64 s[16:17], s[2:3]
	s_xor_b64 s[2:3], exec, s[16:17]
; %bb.228:                              ;   in Loop: Header=BB19_188 Depth=2
	v_min_i32_e32 v10, 15, v10
	v_lshl_or_b32 v2, v10, 3, v2
	v_and_or_b32 v34, v36, 7, v2
                                        ; implicit-def: $vgpr2
; %bb.229:                              ;   in Loop: Header=BB19_188 Depth=2
	s_andn2_saveexec_b64 s[2:3], s[2:3]
; %bb.230:                              ;   in Loop: Header=BB19_188 Depth=2
	v_pk_mov_b32 v[34:35], v[2:3], v[2:3] op_sel:[0,1]
; %bb.231:                              ;   in Loop: Header=BB19_188 Depth=2
	s_or_b64 exec, exec, s[2:3]
.LBB19_232:                             ;   in Loop: Header=BB19_188 Depth=2
	s_or_b64 exec, exec, s[14:15]
.LBB19_233:                             ;   in Loop: Header=BB19_188 Depth=2
	s_andn2_saveexec_b64 s[2:3], s[12:13]
	s_or_b64 exec, exec, s[2:3]
                                        ; implicit-def: $vgpr31
.LBB19_234:                             ;   in Loop: Header=BB19_188 Depth=2
	s_andn2_saveexec_b64 s[2:3], s[10:11]
; %bb.235:                              ;   in Loop: Header=BB19_188 Depth=2
	v_or_b32_sdwa v2, v31, s40 dst_sel:DWORD dst_unused:UNUSED_PAD src0_sel:BYTE_3 src1_sel:DWORD
	v_cmp_eq_u64_e32 vcc, 0, v[10:11]
	v_cndmask_b32_e32 v34, v2, v34, vcc
; %bb.236:                              ;   in Loop: Header=BB19_188 Depth=2
	s_or_b64 exec, exec, s[2:3]
	v_and_b32_e32 v2, 0xffff0000, v3
	v_div_scale_f32 v3, s[2:3], s95, s95, v2
	v_rcp_f32_e32 v10, v3
	v_div_scale_f32 v31, vcc, v2, s95, v2
	v_mov_b32_e32 v39, v11
	v_fma_f32 v33, -v3, v10, 1.0
	v_fmac_f32_e32 v10, v33, v10
	v_mul_f32_e32 v33, v31, v10
	v_fma_f32 v35, -v3, v33, v31
	v_fmac_f32_e32 v33, v35, v10
	v_fma_f32 v3, -v3, v33, v31
	v_div_fmas_f32 v3, v3, v10, v33
	v_div_fixup_f32 v31, v3, s95, v2
	v_and_b32_sdwa v36, v31, s58 dst_sel:DWORD dst_unused:UNUSED_PAD src0_sel:BYTE_3 src1_sel:DWORD
	v_and_b32_e32 v38, 0x7f800000, v31
	v_and_b32_e32 v10, 0x7fffff, v31
	v_or_b32_e32 v2, 0x7e, v36
	v_cmp_ne_u64_e32 vcc, s[62:63], v[38:39]
	s_and_saveexec_b64 s[2:3], vcc
	s_xor_b64 s[10:11], exec, s[2:3]
	s_cbranch_execz .LBB19_250
; %bb.237:                              ;   in Loop: Header=BB19_188 Depth=2
	v_and_b32_e32 v38, 0x7fffffff, v31
	v_mov_b32_e32 v39, v11
	v_cmp_gt_u64_e32 vcc, s[64:65], v[38:39]
	s_and_saveexec_b64 s[2:3], vcc
	s_xor_b64 s[12:13], exec, s[2:3]
	s_cbranch_execz .LBB19_249
; %bb.238:                              ;   in Loop: Header=BB19_188 Depth=2
	v_cmp_ne_u32_e32 vcc, 0, v31
	v_pk_mov_b32 v[2:3], 0, 0
	s_and_saveexec_b64 s[14:15], vcc
	s_cbranch_execz .LBB19_248
; %bb.239:                              ;   in Loop: Header=BB19_188 Depth=2
	v_bfe_u32 v2, v31, 23, 8
	v_sub_u32_e32 v31, 0x79, v2
	v_cmp_gt_u32_e32 vcc, s59, v2
	v_cndmask_b32_e32 v31, 0, v31, vcc
	v_cmp_eq_u32_e32 vcc, 0, v2
	v_cndmask_b32_e32 v31, v31, v89, vcc
	v_add_u32_e32 v3, 0xffffff81, v2
	v_or_b32_e32 v33, 0x800000, v10
	v_add_u32_e32 v2, 20, v31
	v_cndmask_b32_e32 v35, v3, v88, vcc
	v_cndmask_b32_e32 v10, v33, v10, vcc
	v_lshlrev_b64 v[2:3], v2, -1
	v_not_b32_e32 v2, v2
	v_lshrrev_b64 v[40:41], v31, v[10:11]
	v_not_b32_e32 v3, v3
	v_and_b32_e32 v2, v10, v2
	v_add_u32_e32 v33, 19, v31
	v_lshrrev_b32_e32 v10, 23, v40
	v_and_b32_e32 v3, 0, v3
	v_lshlrev_b64 v[38:39], v33, 1
	v_add3_u32 v33, v31, v35, v10
	v_bfe_u32 v10, v40, 20, 1
	v_add_u32_e32 v10, -1, v10
	v_cmp_eq_u64_e32 vcc, v[2:3], v[38:39]
	v_cndmask_b32_e32 v2, 0, v10, vcc
	v_add_u32_e32 v2, v2, v40
	v_and_b32_e32 v2, 0xfffff, v2
	v_add_co_u32_e32 v2, vcc, v2, v40
	v_add_u32_e32 v31, 6, v33
	v_addc_co_u32_e32 v3, vcc, 0, v41, vcc
	v_cmp_ne_u32_e32 vcc, 0, v31
                                        ; implicit-def: $vgpr10
	s_and_saveexec_b64 s[2:3], vcc
	s_xor_b64 s[2:3], exec, s[2:3]
; %bb.240:                              ;   in Loop: Header=BB19_188 Depth=2
	v_add_u32_e32 v10, 7, v33
	v_cmp_lt_u64_e32 vcc, s[66:67], v[2:3]
	v_cndmask_b32_e32 v10, v31, v10, vcc
	v_cndmask_b32_e64 v31, 0, 1, vcc
	v_lshrrev_b64 v[2:3], v31, v[2:3]
; %bb.241:                              ;   in Loop: Header=BB19_188 Depth=2
	s_andn2_saveexec_b64 s[2:3], s[2:3]
; %bb.242:                              ;   in Loop: Header=BB19_188 Depth=2
	v_bfe_u32 v10, v2, 23, 1
; %bb.243:                              ;   in Loop: Header=BB19_188 Depth=2
	s_or_b64 exec, exec, s[2:3]
	v_lshrrev_b64 v[2:3], 20, v[2:3]
	v_cmp_gt_i32_e32 vcc, 16, v10
	v_cndmask_b32_e32 v39, 0, v3, vcc
	v_cndmask_b32_e32 v38, 7, v2, vcc
	v_cmp_ne_u32_e32 vcc, 0, v10
	v_cmp_ne_u64_e64 s[2:3], 0, v[38:39]
	s_or_b64 s[2:3], vcc, s[2:3]
                                        ; implicit-def: $vgpr2_vgpr3
	s_and_saveexec_b64 s[16:17], s[2:3]
	s_xor_b64 s[2:3], exec, s[16:17]
; %bb.244:                              ;   in Loop: Header=BB19_188 Depth=2
	v_min_i32_e32 v2, 15, v10
	v_lshl_or_b32 v2, v2, 3, v36
	v_and_or_b32 v2, v38, 7, v2
                                        ; implicit-def: $vgpr36
; %bb.245:                              ;   in Loop: Header=BB19_188 Depth=2
	s_andn2_saveexec_b64 s[2:3], s[2:3]
; %bb.246:                              ;   in Loop: Header=BB19_188 Depth=2
	v_pk_mov_b32 v[2:3], v[36:37], v[36:37] op_sel:[0,1]
; %bb.247:                              ;   in Loop: Header=BB19_188 Depth=2
	s_or_b64 exec, exec, s[2:3]
.LBB19_248:                             ;   in Loop: Header=BB19_188 Depth=2
	s_or_b64 exec, exec, s[14:15]
.LBB19_249:                             ;   in Loop: Header=BB19_188 Depth=2
	s_andn2_saveexec_b64 s[2:3], s[12:13]
	s_or_b64 exec, exec, s[2:3]
                                        ; implicit-def: $vgpr31
.LBB19_250:                             ;   in Loop: Header=BB19_188 Depth=2
	s_andn2_saveexec_b64 s[2:3], s[10:11]
; %bb.251:                              ;   in Loop: Header=BB19_188 Depth=2
	v_or_b32_sdwa v3, v31, s40 dst_sel:DWORD dst_unused:UNUSED_PAD src0_sel:BYTE_3 src1_sel:DWORD
	v_cmp_eq_u64_e32 vcc, 0, v[10:11]
	v_cndmask_b32_e32 v2, v3, v2, vcc
; %bb.252:                              ;   in Loop: Header=BB19_188 Depth=2
	s_or_b64 exec, exec, s[2:3]
	v_lshlrev_b32_e32 v3, 16, v4
	v_div_scale_f32 v10, s[2:3], s95, s95, v3
	v_rcp_f32_e32 v31, v10
	v_div_scale_f32 v33, vcc, v3, s95, v3
	v_mov_b32_e32 v41, v11
	v_fma_f32 v35, -v10, v31, 1.0
	v_fmac_f32_e32 v31, v35, v31
	v_mul_f32_e32 v35, v33, v31
	v_fma_f32 v36, -v10, v35, v33
	v_fmac_f32_e32 v35, v36, v31
	v_fma_f32 v10, -v10, v35, v33
	v_div_fmas_f32 v10, v10, v31, v35
	v_div_fixup_f32 v3, v10, s95, v3
	v_and_b32_sdwa v38, v3, s58 dst_sel:DWORD dst_unused:UNUSED_PAD src0_sel:BYTE_3 src1_sel:DWORD
	v_and_b32_e32 v40, 0x7f800000, v3
	v_and_b32_e32 v10, 0x7fffff, v3
	v_or_b32_e32 v36, 0x7e, v38
	v_cmp_ne_u64_e32 vcc, s[62:63], v[40:41]
	s_and_saveexec_b64 s[2:3], vcc
	s_xor_b64 s[10:11], exec, s[2:3]
	s_cbranch_execz .LBB19_266
; %bb.253:                              ;   in Loop: Header=BB19_188 Depth=2
	v_and_b32_e32 v40, 0x7fffffff, v3
	v_mov_b32_e32 v41, v11
	v_cmp_gt_u64_e32 vcc, s[64:65], v[40:41]
	s_and_saveexec_b64 s[2:3], vcc
	s_xor_b64 s[12:13], exec, s[2:3]
	s_cbranch_execz .LBB19_265
; %bb.254:                              ;   in Loop: Header=BB19_188 Depth=2
	v_cmp_ne_u32_e32 vcc, 0, v3
	v_pk_mov_b32 v[36:37], 0, 0
	s_and_saveexec_b64 s[14:15], vcc
	s_cbranch_execz .LBB19_264
; %bb.255:                              ;   in Loop: Header=BB19_188 Depth=2
	v_bfe_u32 v3, v3, 23, 8
	v_sub_u32_e32 v33, 0x79, v3
	v_cmp_gt_u32_e32 vcc, s59, v3
	v_add_u32_e32 v31, 0xffffff81, v3
	v_cndmask_b32_e32 v33, 0, v33, vcc
	v_cmp_eq_u32_e32 vcc, 0, v3
	v_cndmask_b32_e32 v3, v31, v88, vcc
	v_cndmask_b32_e32 v31, v33, v89, vcc
	v_or_b32_e32 v35, 0x800000, v10
	v_add_u32_e32 v33, 20, v31
	v_cndmask_b32_e32 v10, v35, v10, vcc
	v_lshlrev_b64 v[36:37], v33, -1
	v_not_b32_e32 v33, v37
	v_not_b32_e32 v35, v36
	v_lshrrev_b64 v[42:43], v31, v[10:11]
	v_and_b32_e32 v37, 0, v33
	v_and_b32_e32 v36, v10, v35
	v_add_u32_e32 v33, 19, v31
	v_lshrrev_b32_e32 v10, 23, v42
	v_lshlrev_b64 v[40:41], v33, 1
	v_add3_u32 v31, v31, v3, v10
	v_bfe_u32 v3, v42, 20, 1
	v_add_u32_e32 v3, -1, v3
	v_cmp_eq_u64_e32 vcc, v[36:37], v[40:41]
	v_cndmask_b32_e32 v3, 0, v3, vcc
	v_add_u32_e32 v3, v3, v42
	v_and_b32_e32 v3, 0xfffff, v3
	v_add_co_u32_e32 v36, vcc, v3, v42
	v_add_u32_e32 v10, 6, v31
	v_addc_co_u32_e32 v37, vcc, 0, v43, vcc
	v_cmp_ne_u32_e32 vcc, 0, v10
                                        ; implicit-def: $vgpr3
	s_and_saveexec_b64 s[2:3], vcc
	s_xor_b64 s[2:3], exec, s[2:3]
; %bb.256:                              ;   in Loop: Header=BB19_188 Depth=2
	v_add_u32_e32 v3, 7, v31
	v_cmp_lt_u64_e32 vcc, s[66:67], v[36:37]
	v_cndmask_b32_e32 v3, v10, v3, vcc
	v_cndmask_b32_e64 v10, 0, 1, vcc
	v_lshrrev_b64 v[36:37], v10, v[36:37]
; %bb.257:                              ;   in Loop: Header=BB19_188 Depth=2
	s_andn2_saveexec_b64 s[2:3], s[2:3]
; %bb.258:                              ;   in Loop: Header=BB19_188 Depth=2
	v_bfe_u32 v3, v36, 23, 1
; %bb.259:                              ;   in Loop: Header=BB19_188 Depth=2
	s_or_b64 exec, exec, s[2:3]
	v_lshrrev_b64 v[36:37], 20, v[36:37]
	v_cmp_gt_i32_e32 vcc, 16, v3
	v_cndmask_b32_e32 v41, 0, v37, vcc
	v_cndmask_b32_e32 v40, 7, v36, vcc
	v_cmp_ne_u32_e32 vcc, 0, v3
	v_cmp_ne_u64_e64 s[2:3], 0, v[40:41]
	s_or_b64 s[2:3], vcc, s[2:3]
                                        ; implicit-def: $vgpr36_vgpr37
	s_and_saveexec_b64 s[16:17], s[2:3]
	s_xor_b64 s[2:3], exec, s[16:17]
; %bb.260:                              ;   in Loop: Header=BB19_188 Depth=2
	v_min_i32_e32 v3, 15, v3
	v_lshl_or_b32 v3, v3, 3, v38
	v_and_or_b32 v36, v40, 7, v3
                                        ; implicit-def: $vgpr38
; %bb.261:                              ;   in Loop: Header=BB19_188 Depth=2
	s_andn2_saveexec_b64 s[2:3], s[2:3]
; %bb.262:                              ;   in Loop: Header=BB19_188 Depth=2
	v_pk_mov_b32 v[36:37], v[38:39], v[38:39] op_sel:[0,1]
; %bb.263:                              ;   in Loop: Header=BB19_188 Depth=2
	s_or_b64 exec, exec, s[2:3]
.LBB19_264:                             ;   in Loop: Header=BB19_188 Depth=2
	s_or_b64 exec, exec, s[14:15]
.LBB19_265:                             ;   in Loop: Header=BB19_188 Depth=2
	s_andn2_saveexec_b64 s[2:3], s[12:13]
	s_or_b64 exec, exec, s[2:3]
                                        ; implicit-def: $vgpr3
.LBB19_266:                             ;   in Loop: Header=BB19_188 Depth=2
	s_andn2_saveexec_b64 s[2:3], s[10:11]
; %bb.267:                              ;   in Loop: Header=BB19_188 Depth=2
	v_or_b32_sdwa v3, v3, s40 dst_sel:DWORD dst_unused:UNUSED_PAD src0_sel:BYTE_3 src1_sel:DWORD
	v_cmp_eq_u64_e32 vcc, 0, v[10:11]
	v_cndmask_b32_e32 v36, v3, v36, vcc
; %bb.268:                              ;   in Loop: Header=BB19_188 Depth=2
	s_or_b64 exec, exec, s[2:3]
	v_and_b32_e32 v3, 0xffff0000, v4
	v_div_scale_f32 v4, s[2:3], s95, s95, v3
	v_rcp_f32_e32 v10, v4
	v_div_scale_f32 v31, vcc, v3, s95, v3
	v_mov_b32_e32 v41, v11
	v_fma_f32 v33, -v4, v10, 1.0
	v_fmac_f32_e32 v10, v33, v10
	v_mul_f32_e32 v33, v31, v10
	v_fma_f32 v35, -v4, v33, v31
	v_fmac_f32_e32 v33, v35, v10
	v_fma_f32 v4, -v4, v33, v31
	v_div_fmas_f32 v4, v4, v10, v33
	v_div_fixup_f32 v3, v4, s95, v3
	v_and_b32_sdwa v4, v3, s58 dst_sel:DWORD dst_unused:UNUSED_PAD src0_sel:BYTE_3 src1_sel:DWORD
	v_and_b32_e32 v40, 0x7f800000, v3
	v_and_b32_e32 v10, 0x7fffff, v3
	v_or_b32_e32 v38, 0x7e, v4
	v_cmp_ne_u64_e32 vcc, s[62:63], v[40:41]
	s_and_saveexec_b64 s[2:3], vcc
	s_xor_b64 s[10:11], exec, s[2:3]
	s_cbranch_execz .LBB19_282
; %bb.269:                              ;   in Loop: Header=BB19_188 Depth=2
	v_and_b32_e32 v40, 0x7fffffff, v3
	v_mov_b32_e32 v41, v11
	v_cmp_gt_u64_e32 vcc, s[64:65], v[40:41]
	s_and_saveexec_b64 s[2:3], vcc
	s_xor_b64 s[12:13], exec, s[2:3]
	s_cbranch_execz .LBB19_281
; %bb.270:                              ;   in Loop: Header=BB19_188 Depth=2
	v_cmp_ne_u32_e32 vcc, 0, v3
	v_pk_mov_b32 v[38:39], 0, 0
	s_and_saveexec_b64 s[14:15], vcc
	s_cbranch_execz .LBB19_280
; %bb.271:                              ;   in Loop: Header=BB19_188 Depth=2
	v_bfe_u32 v3, v3, 23, 8
	v_sub_u32_e32 v33, 0x79, v3
	v_cmp_gt_u32_e32 vcc, s59, v3
	v_add_u32_e32 v31, 0xffffff81, v3
	v_cndmask_b32_e32 v33, 0, v33, vcc
	v_cmp_eq_u32_e32 vcc, 0, v3
	v_cndmask_b32_e32 v3, v31, v88, vcc
	v_cndmask_b32_e32 v31, v33, v89, vcc
	v_or_b32_e32 v35, 0x800000, v10
	v_add_u32_e32 v33, 20, v31
	v_cndmask_b32_e32 v10, v35, v10, vcc
	v_lshlrev_b64 v[38:39], v33, -1
	v_not_b32_e32 v33, v39
	v_not_b32_e32 v35, v38
	v_lshrrev_b64 v[42:43], v31, v[10:11]
	v_and_b32_e32 v39, 0, v33
	v_and_b32_e32 v38, v10, v35
	v_add_u32_e32 v33, 19, v31
	v_lshrrev_b32_e32 v10, 23, v42
	v_lshlrev_b64 v[40:41], v33, 1
	v_add3_u32 v31, v31, v3, v10
	v_bfe_u32 v3, v42, 20, 1
	v_add_u32_e32 v3, -1, v3
	v_cmp_eq_u64_e32 vcc, v[38:39], v[40:41]
	v_cndmask_b32_e32 v3, 0, v3, vcc
	v_add_u32_e32 v3, v3, v42
	v_and_b32_e32 v3, 0xfffff, v3
	v_add_co_u32_e32 v38, vcc, v3, v42
	v_add_u32_e32 v10, 6, v31
	v_addc_co_u32_e32 v39, vcc, 0, v43, vcc
	v_cmp_ne_u32_e32 vcc, 0, v10
                                        ; implicit-def: $vgpr3
	s_and_saveexec_b64 s[2:3], vcc
	s_xor_b64 s[2:3], exec, s[2:3]
; %bb.272:                              ;   in Loop: Header=BB19_188 Depth=2
	v_add_u32_e32 v3, 7, v31
	v_cmp_lt_u64_e32 vcc, s[66:67], v[38:39]
	v_cndmask_b32_e32 v3, v10, v3, vcc
	v_cndmask_b32_e64 v10, 0, 1, vcc
	v_lshrrev_b64 v[38:39], v10, v[38:39]
; %bb.273:                              ;   in Loop: Header=BB19_188 Depth=2
	s_andn2_saveexec_b64 s[2:3], s[2:3]
; %bb.274:                              ;   in Loop: Header=BB19_188 Depth=2
	v_bfe_u32 v3, v38, 23, 1
; %bb.275:                              ;   in Loop: Header=BB19_188 Depth=2
	s_or_b64 exec, exec, s[2:3]
	v_lshrrev_b64 v[38:39], 20, v[38:39]
	v_cmp_gt_i32_e32 vcc, 16, v3
	v_cndmask_b32_e32 v41, 0, v39, vcc
	v_cndmask_b32_e32 v40, 7, v38, vcc
	v_cmp_ne_u32_e32 vcc, 0, v3
	v_cmp_ne_u64_e64 s[2:3], 0, v[40:41]
	s_or_b64 s[2:3], vcc, s[2:3]
                                        ; implicit-def: $vgpr38_vgpr39
	s_and_saveexec_b64 s[16:17], s[2:3]
	s_xor_b64 s[2:3], exec, s[16:17]
; %bb.276:                              ;   in Loop: Header=BB19_188 Depth=2
	v_min_i32_e32 v3, 15, v3
	v_lshl_or_b32 v3, v3, 3, v4
	v_and_or_b32 v38, v40, 7, v3
                                        ; implicit-def: $vgpr4
; %bb.277:                              ;   in Loop: Header=BB19_188 Depth=2
	s_andn2_saveexec_b64 s[2:3], s[2:3]
; %bb.278:                              ;   in Loop: Header=BB19_188 Depth=2
	v_pk_mov_b32 v[38:39], v[4:5], v[4:5] op_sel:[0,1]
; %bb.279:                              ;   in Loop: Header=BB19_188 Depth=2
	s_or_b64 exec, exec, s[2:3]
.LBB19_280:                             ;   in Loop: Header=BB19_188 Depth=2
	s_or_b64 exec, exec, s[14:15]
.LBB19_281:                             ;   in Loop: Header=BB19_188 Depth=2
	s_andn2_saveexec_b64 s[2:3], s[12:13]
	s_or_b64 exec, exec, s[2:3]
                                        ; implicit-def: $vgpr3
.LBB19_282:                             ;   in Loop: Header=BB19_188 Depth=2
	s_andn2_saveexec_b64 s[2:3], s[10:11]
; %bb.283:                              ;   in Loop: Header=BB19_188 Depth=2
	v_or_b32_sdwa v3, v3, s40 dst_sel:DWORD dst_unused:UNUSED_PAD src0_sel:BYTE_3 src1_sel:DWORD
	v_cmp_eq_u64_e32 vcc, 0, v[10:11]
	v_cndmask_b32_e32 v38, v3, v38, vcc
; %bb.284:                              ;   in Loop: Header=BB19_188 Depth=2
	s_or_b64 exec, exec, s[2:3]
	v_lshlrev_b32_e32 v3, 16, v5
	v_div_scale_f32 v4, s[2:3], s95, s95, v3
	v_rcp_f32_e32 v10, v4
	v_div_scale_f32 v31, vcc, v3, s95, v3
	v_mov_b32_e32 v43, v11
	v_fma_f32 v33, -v4, v10, 1.0
	v_fmac_f32_e32 v10, v33, v10
	v_mul_f32_e32 v33, v31, v10
	v_fma_f32 v35, -v4, v33, v31
	v_fmac_f32_e32 v33, v35, v10
	v_fma_f32 v4, -v4, v33, v31
	v_div_fmas_f32 v4, v4, v10, v33
	v_div_fixup_f32 v3, v4, s95, v3
	v_and_b32_sdwa v4, v3, s58 dst_sel:DWORD dst_unused:UNUSED_PAD src0_sel:BYTE_3 src1_sel:DWORD
	v_and_b32_e32 v42, 0x7f800000, v3
	v_and_b32_e32 v10, 0x7fffff, v3
	v_or_b32_e32 v40, 0x7e, v4
	v_cmp_ne_u64_e32 vcc, s[62:63], v[42:43]
	s_and_saveexec_b64 s[2:3], vcc
	s_xor_b64 s[10:11], exec, s[2:3]
	s_cbranch_execz .LBB19_298
; %bb.285:                              ;   in Loop: Header=BB19_188 Depth=2
	v_and_b32_e32 v42, 0x7fffffff, v3
	v_mov_b32_e32 v43, v11
	v_cmp_gt_u64_e32 vcc, s[64:65], v[42:43]
	s_and_saveexec_b64 s[2:3], vcc
	s_xor_b64 s[12:13], exec, s[2:3]
	s_cbranch_execz .LBB19_297
; %bb.286:                              ;   in Loop: Header=BB19_188 Depth=2
	v_cmp_ne_u32_e32 vcc, 0, v3
	v_pk_mov_b32 v[40:41], 0, 0
	s_and_saveexec_b64 s[14:15], vcc
	s_cbranch_execz .LBB19_296
; %bb.287:                              ;   in Loop: Header=BB19_188 Depth=2
	v_bfe_u32 v3, v3, 23, 8
	v_sub_u32_e32 v33, 0x79, v3
	v_cmp_gt_u32_e32 vcc, s59, v3
	v_add_u32_e32 v31, 0xffffff81, v3
	v_cndmask_b32_e32 v33, 0, v33, vcc
	v_cmp_eq_u32_e32 vcc, 0, v3
	v_cndmask_b32_e32 v3, v31, v88, vcc
	v_cndmask_b32_e32 v31, v33, v89, vcc
	v_or_b32_e32 v35, 0x800000, v10
	v_add_u32_e32 v33, 20, v31
	v_cndmask_b32_e32 v10, v35, v10, vcc
	v_lshlrev_b64 v[40:41], v33, -1
	v_not_b32_e32 v33, v41
	v_not_b32_e32 v35, v40
	v_lshrrev_b64 v[44:45], v31, v[10:11]
	v_and_b32_e32 v41, 0, v33
	v_and_b32_e32 v40, v10, v35
	v_add_u32_e32 v33, 19, v31
	v_lshrrev_b32_e32 v10, 23, v44
	v_lshlrev_b64 v[42:43], v33, 1
	v_add3_u32 v31, v31, v3, v10
	v_bfe_u32 v3, v44, 20, 1
	v_add_u32_e32 v3, -1, v3
	v_cmp_eq_u64_e32 vcc, v[40:41], v[42:43]
	v_cndmask_b32_e32 v3, 0, v3, vcc
	v_add_u32_e32 v3, v3, v44
	v_and_b32_e32 v3, 0xfffff, v3
	v_add_co_u32_e32 v40, vcc, v3, v44
	v_add_u32_e32 v10, 6, v31
	v_addc_co_u32_e32 v41, vcc, 0, v45, vcc
	v_cmp_ne_u32_e32 vcc, 0, v10
                                        ; implicit-def: $vgpr3
	s_and_saveexec_b64 s[2:3], vcc
	s_xor_b64 s[2:3], exec, s[2:3]
; %bb.288:                              ;   in Loop: Header=BB19_188 Depth=2
	v_add_u32_e32 v3, 7, v31
	v_cmp_lt_u64_e32 vcc, s[66:67], v[40:41]
	v_cndmask_b32_e32 v3, v10, v3, vcc
	v_cndmask_b32_e64 v10, 0, 1, vcc
	v_lshrrev_b64 v[40:41], v10, v[40:41]
; %bb.289:                              ;   in Loop: Header=BB19_188 Depth=2
	s_andn2_saveexec_b64 s[2:3], s[2:3]
; %bb.290:                              ;   in Loop: Header=BB19_188 Depth=2
	v_bfe_u32 v3, v40, 23, 1
; %bb.291:                              ;   in Loop: Header=BB19_188 Depth=2
	s_or_b64 exec, exec, s[2:3]
	v_lshrrev_b64 v[40:41], 20, v[40:41]
	v_cmp_gt_i32_e32 vcc, 16, v3
	v_cndmask_b32_e32 v43, 0, v41, vcc
	v_cndmask_b32_e32 v42, 7, v40, vcc
	v_cmp_ne_u32_e32 vcc, 0, v3
	v_cmp_ne_u64_e64 s[2:3], 0, v[42:43]
	s_or_b64 s[2:3], vcc, s[2:3]
                                        ; implicit-def: $vgpr40_vgpr41
	s_and_saveexec_b64 s[16:17], s[2:3]
	s_xor_b64 s[2:3], exec, s[16:17]
; %bb.292:                              ;   in Loop: Header=BB19_188 Depth=2
	v_min_i32_e32 v3, 15, v3
	v_lshl_or_b32 v3, v3, 3, v4
	v_and_or_b32 v40, v42, 7, v3
                                        ; implicit-def: $vgpr4
; %bb.293:                              ;   in Loop: Header=BB19_188 Depth=2
	s_andn2_saveexec_b64 s[2:3], s[2:3]
; %bb.294:                              ;   in Loop: Header=BB19_188 Depth=2
	v_pk_mov_b32 v[40:41], v[4:5], v[4:5] op_sel:[0,1]
; %bb.295:                              ;   in Loop: Header=BB19_188 Depth=2
	s_or_b64 exec, exec, s[2:3]
.LBB19_296:                             ;   in Loop: Header=BB19_188 Depth=2
	s_or_b64 exec, exec, s[14:15]
.LBB19_297:                             ;   in Loop: Header=BB19_188 Depth=2
	s_andn2_saveexec_b64 s[2:3], s[12:13]
	s_or_b64 exec, exec, s[2:3]
                                        ; implicit-def: $vgpr3
.LBB19_298:                             ;   in Loop: Header=BB19_188 Depth=2
	s_andn2_saveexec_b64 s[2:3], s[10:11]
; %bb.299:                              ;   in Loop: Header=BB19_188 Depth=2
	v_or_b32_sdwa v3, v3, s40 dst_sel:DWORD dst_unused:UNUSED_PAD src0_sel:BYTE_3 src1_sel:DWORD
	v_cmp_eq_u64_e32 vcc, 0, v[10:11]
	v_cndmask_b32_e32 v40, v3, v40, vcc
; %bb.300:                              ;   in Loop: Header=BB19_188 Depth=2
	s_or_b64 exec, exec, s[2:3]
	v_and_b32_e32 v3, 0xffff0000, v5
	v_div_scale_f32 v4, s[2:3], s95, s95, v3
	v_rcp_f32_e32 v5, v4
	v_div_scale_f32 v10, vcc, v3, s95, v3
	v_mov_b32_e32 v45, v11
	v_fma_f32 v31, -v4, v5, 1.0
	v_fmac_f32_e32 v5, v31, v5
	v_mul_f32_e32 v31, v10, v5
	v_fma_f32 v33, -v4, v31, v10
	v_fmac_f32_e32 v31, v33, v5
	v_fma_f32 v4, -v4, v31, v10
	v_div_fmas_f32 v4, v4, v5, v31
	v_div_fixup_f32 v3, v4, s95, v3
	v_and_b32_sdwa v4, v3, s58 dst_sel:DWORD dst_unused:UNUSED_PAD src0_sel:BYTE_3 src1_sel:DWORD
	v_and_b32_e32 v44, 0x7f800000, v3
	v_and_b32_e32 v10, 0x7fffff, v3
	v_or_b32_e32 v42, 0x7e, v4
	v_cmp_ne_u64_e32 vcc, s[62:63], v[44:45]
	s_and_saveexec_b64 s[2:3], vcc
	s_xor_b64 s[10:11], exec, s[2:3]
	s_cbranch_execz .LBB19_314
; %bb.301:                              ;   in Loop: Header=BB19_188 Depth=2
	v_and_b32_e32 v44, 0x7fffffff, v3
	v_mov_b32_e32 v45, v11
	v_cmp_gt_u64_e32 vcc, s[64:65], v[44:45]
	s_and_saveexec_b64 s[2:3], vcc
	s_xor_b64 s[12:13], exec, s[2:3]
	s_cbranch_execz .LBB19_313
; %bb.302:                              ;   in Loop: Header=BB19_188 Depth=2
	v_cmp_ne_u32_e32 vcc, 0, v3
	v_pk_mov_b32 v[42:43], 0, 0
	s_and_saveexec_b64 s[14:15], vcc
	s_cbranch_execz .LBB19_312
; %bb.303:                              ;   in Loop: Header=BB19_188 Depth=2
	v_bfe_u32 v3, v3, 23, 8
	v_sub_u32_e32 v31, 0x79, v3
	v_cmp_gt_u32_e32 vcc, s59, v3
	v_add_u32_e32 v5, 0xffffff81, v3
	v_cndmask_b32_e32 v31, 0, v31, vcc
	v_cmp_eq_u32_e32 vcc, 0, v3
	v_cndmask_b32_e32 v3, v5, v88, vcc
	v_cndmask_b32_e32 v5, v31, v89, vcc
	v_or_b32_e32 v33, 0x800000, v10
	v_add_u32_e32 v31, 20, v5
	v_cndmask_b32_e32 v10, v33, v10, vcc
	v_lshlrev_b64 v[42:43], v31, -1
	v_not_b32_e32 v31, v43
	v_not_b32_e32 v33, v42
	v_lshrrev_b64 v[46:47], v5, v[10:11]
	v_and_b32_e32 v43, 0, v31
	v_and_b32_e32 v42, v10, v33
	v_add_u32_e32 v31, 19, v5
	v_lshrrev_b32_e32 v10, 23, v46
	v_lshlrev_b64 v[44:45], v31, 1
	v_add3_u32 v10, v5, v3, v10
	v_bfe_u32 v3, v46, 20, 1
	v_add_u32_e32 v3, -1, v3
	v_cmp_eq_u64_e32 vcc, v[42:43], v[44:45]
	v_cndmask_b32_e32 v3, 0, v3, vcc
	v_add_u32_e32 v3, v3, v46
	v_and_b32_e32 v3, 0xfffff, v3
	v_add_co_u32_e32 v42, vcc, v3, v46
	v_add_u32_e32 v5, 6, v10
	v_addc_co_u32_e32 v43, vcc, 0, v47, vcc
	v_cmp_ne_u32_e32 vcc, 0, v5
                                        ; implicit-def: $vgpr3
	s_and_saveexec_b64 s[2:3], vcc
	s_xor_b64 s[2:3], exec, s[2:3]
; %bb.304:                              ;   in Loop: Header=BB19_188 Depth=2
	v_add_u32_e32 v3, 7, v10
	v_cmp_lt_u64_e32 vcc, s[66:67], v[42:43]
	v_cndmask_b32_e32 v3, v5, v3, vcc
	v_cndmask_b32_e64 v5, 0, 1, vcc
	v_lshrrev_b64 v[42:43], v5, v[42:43]
; %bb.305:                              ;   in Loop: Header=BB19_188 Depth=2
	s_andn2_saveexec_b64 s[2:3], s[2:3]
; %bb.306:                              ;   in Loop: Header=BB19_188 Depth=2
	v_bfe_u32 v3, v42, 23, 1
; %bb.307:                              ;   in Loop: Header=BB19_188 Depth=2
	s_or_b64 exec, exec, s[2:3]
	v_lshrrev_b64 v[42:43], 20, v[42:43]
	v_cmp_gt_i32_e32 vcc, 16, v3
	v_cndmask_b32_e32 v45, 0, v43, vcc
	v_cndmask_b32_e32 v44, 7, v42, vcc
	v_cmp_ne_u32_e32 vcc, 0, v3
	v_cmp_ne_u64_e64 s[2:3], 0, v[44:45]
	s_or_b64 s[2:3], vcc, s[2:3]
                                        ; implicit-def: $vgpr42_vgpr43
	s_and_saveexec_b64 s[16:17], s[2:3]
	s_xor_b64 s[2:3], exec, s[16:17]
; %bb.308:                              ;   in Loop: Header=BB19_188 Depth=2
	v_min_i32_e32 v3, 15, v3
	v_lshl_or_b32 v3, v3, 3, v4
	v_and_or_b32 v42, v44, 7, v3
                                        ; implicit-def: $vgpr4
; %bb.309:                              ;   in Loop: Header=BB19_188 Depth=2
	s_andn2_saveexec_b64 s[2:3], s[2:3]
; %bb.310:                              ;   in Loop: Header=BB19_188 Depth=2
	v_pk_mov_b32 v[42:43], v[4:5], v[4:5] op_sel:[0,1]
; %bb.311:                              ;   in Loop: Header=BB19_188 Depth=2
	s_or_b64 exec, exec, s[2:3]
.LBB19_312:                             ;   in Loop: Header=BB19_188 Depth=2
	s_or_b64 exec, exec, s[14:15]
.LBB19_313:                             ;   in Loop: Header=BB19_188 Depth=2
	s_andn2_saveexec_b64 s[2:3], s[12:13]
	s_or_b64 exec, exec, s[2:3]
                                        ; implicit-def: $vgpr3
.LBB19_314:                             ;   in Loop: Header=BB19_188 Depth=2
	s_andn2_saveexec_b64 s[2:3], s[10:11]
	s_cbranch_execz .LBB19_187
; %bb.315:                              ;   in Loop: Header=BB19_188 Depth=2
	v_or_b32_sdwa v3, v3, s40 dst_sel:DWORD dst_unused:UNUSED_PAD src0_sel:BYTE_3 src1_sel:DWORD
	v_cmp_eq_u64_e32 vcc, 0, v[10:11]
	v_cndmask_b32_e32 v42, v3, v42, vcc
	s_branch .LBB19_187
.LBB19_316:                             ;   in Loop: Header=BB19_9 Depth=1
	s_or_b64 exec, exec, s[6:7]
.LBB19_317:                             ;   in Loop: Header=BB19_9 Depth=1
	s_or_b64 exec, exec, s[4:5]
	v_mov_b32_e32 v2, s93
	v_add_co_u32_e32 v46, vcc, s92, v26
	v_addc_co_u32_e32 v47, vcc, v2, v27, vcc
	v_and_b32_e32 v10, 15, v46
	v_cmp_ne_u64_e32 vcc, 0, v[10:11]
	s_or_b64 s[2:3], s[60:61], vcc
	s_and_saveexec_b64 s[4:5], s[2:3]
	s_xor_b64 s[70:71], exec, s[4:5]
	s_cbranch_execz .LBB19_492
; %bb.318:                              ;   in Loop: Header=BB19_9 Depth=1
	v_mov_b32_e32 v2, s35
	v_add_co_u32_e32 v48, vcc, s34, v24
	v_addc_co_u32_e32 v49, vcc, v2, v15, vcc
	v_sub_u32_e32 v2, 0, v46
	v_bfe_u32 v2, v2, 1, 3
	v_min_i32_e32 v24, s57, v2
	v_cmp_gt_i32_e32 vcc, v24, v8
	s_and_saveexec_b64 s[4:5], vcc
	s_cbranch_execz .LBB19_336
; %bb.319:                              ;   in Loop: Header=BB19_9 Depth=1
	v_lshlrev_b32_e32 v2, 1, v8
	v_add_co_u32_e32 v2, vcc, v46, v2
	v_addc_co_u32_e32 v3, vcc, 0, v47, vcc
	global_load_ushort v2, v[2:3], off
	v_mov_b32_e32 v7, v11
	s_waitcnt vmcnt(0)
	v_lshlrev_b32_e32 v2, 16, v2
	v_div_scale_f32 v3, s[2:3], s33, s33, v2
	v_rcp_f32_e32 v4, v3
	v_div_scale_f32 v5, vcc, v2, s33, v2
	v_fma_f32 v6, -v3, v4, 1.0
	v_fmac_f32_e32 v4, v6, v4
	v_mul_f32_e32 v6, v5, v4
	v_fma_f32 v10, -v3, v6, v5
	v_fmac_f32_e32 v6, v10, v4
	v_fma_f32 v3, -v3, v6, v5
	v_div_fmas_f32 v3, v3, v4, v6
	v_div_fixup_f32 v2, v3, s33, v2
	v_and_b32_sdwa v4, v2, s58 dst_sel:DWORD dst_unused:UNUSED_PAD src0_sel:BYTE_3 src1_sel:DWORD
	v_and_b32_e32 v6, 0x7f800000, v2
	v_and_b32_e32 v10, 0x7fffff, v2
	v_or_b32_e32 v3, 0x7e, v4
	v_cmp_ne_u64_e32 vcc, s[62:63], v[6:7]
	s_and_saveexec_b64 s[2:3], vcc
	s_xor_b64 s[6:7], exec, s[2:3]
	s_cbranch_execz .LBB19_333
; %bb.320:                              ;   in Loop: Header=BB19_9 Depth=1
	v_and_b32_e32 v6, 0x7fffffff, v2
	v_mov_b32_e32 v7, v11
	v_cmp_gt_u64_e32 vcc, s[64:65], v[6:7]
	s_and_saveexec_b64 s[2:3], vcc
	s_xor_b64 s[8:9], exec, s[2:3]
	s_cbranch_execz .LBB19_332
; %bb.321:                              ;   in Loop: Header=BB19_9 Depth=1
	v_cmp_ne_u32_e32 vcc, 0, v2
	v_mov_b32_e32 v3, 0
	s_and_saveexec_b64 s[10:11], vcc
	s_cbranch_execz .LBB19_331
; %bb.322:                              ;   in Loop: Header=BB19_9 Depth=1
	v_bfe_u32 v2, v2, 23, 8
	v_sub_u32_e32 v5, 0x79, v2
	v_cmp_gt_u32_e32 vcc, s59, v2
	v_cndmask_b32_e32 v5, 0, v5, vcc
	v_cmp_eq_u32_e32 vcc, 0, v2
	v_or_b32_e32 v6, 0x800000, v10
	v_cndmask_b32_e32 v5, v5, v89, vcc
	v_add_u32_e32 v3, 0xffffff81, v2
	v_cndmask_b32_e32 v10, v6, v10, vcc
	v_add_u32_e32 v2, 20, v5
	v_cndmask_b32_e32 v7, v3, v88, vcc
	v_lshlrev_b64 v[2:3], v2, -1
	v_add_u32_e32 v6, 19, v5
	v_lshrrev_b64 v[28:29], v5, v[10:11]
	v_not_b32_e32 v3, v3
	v_not_b32_e32 v2, v2
	v_lshlrev_b64 v[26:27], v6, 1
	v_lshrrev_b32_e32 v6, 23, v28
	v_and_b32_e32 v3, 0, v3
	v_and_b32_e32 v2, v10, v2
	v_add3_u32 v7, v5, v7, v6
	v_bfe_u32 v5, v28, 20, 1
	v_add_u32_e32 v5, -1, v5
	v_cmp_eq_u64_e32 vcc, v[2:3], v[26:27]
	v_cndmask_b32_e32 v2, 0, v5, vcc
	v_add_u32_e32 v2, v2, v28
	v_and_b32_e32 v2, 0xfffff, v2
	v_add_co_u32_e32 v2, vcc, v2, v28
	v_add_u32_e32 v6, 6, v7
	v_addc_co_u32_e32 v3, vcc, 0, v29, vcc
	v_cmp_ne_u32_e32 vcc, 0, v6
                                        ; implicit-def: $vgpr5
	s_and_saveexec_b64 s[2:3], vcc
	s_xor_b64 s[2:3], exec, s[2:3]
; %bb.323:                              ;   in Loop: Header=BB19_9 Depth=1
	v_add_u32_e32 v5, 7, v7
	v_cmp_lt_u64_e32 vcc, s[66:67], v[2:3]
	v_cndmask_b32_e32 v5, v6, v5, vcc
	v_cndmask_b32_e64 v6, 0, 1, vcc
	v_lshrrev_b64 v[2:3], v6, v[2:3]
; %bb.324:                              ;   in Loop: Header=BB19_9 Depth=1
	s_andn2_saveexec_b64 s[2:3], s[2:3]
; %bb.325:                              ;   in Loop: Header=BB19_9 Depth=1
	v_bfe_u32 v5, v2, 23, 1
; %bb.326:                              ;   in Loop: Header=BB19_9 Depth=1
	s_or_b64 exec, exec, s[2:3]
	v_lshrrev_b64 v[2:3], 20, v[2:3]
	v_cmp_gt_i32_e32 vcc, 16, v5
	v_cndmask_b32_e32 v3, 0, v3, vcc
	v_cndmask_b32_e32 v2, 7, v2, vcc
	v_cmp_ne_u32_e32 vcc, 0, v5
	v_cmp_ne_u64_e64 s[2:3], 0, v[2:3]
	s_or_b64 s[2:3], vcc, s[2:3]
                                        ; implicit-def: $vgpr3
	s_and_saveexec_b64 s[12:13], s[2:3]
	s_xor_b64 s[2:3], exec, s[12:13]
; %bb.327:                              ;   in Loop: Header=BB19_9 Depth=1
	v_min_i32_e32 v3, 15, v5
	v_lshl_or_b32 v3, v3, 3, v4
	v_and_or_b32 v3, v2, 7, v3
                                        ; implicit-def: $vgpr4
; %bb.328:                              ;   in Loop: Header=BB19_9 Depth=1
	s_andn2_saveexec_b64 s[2:3], s[2:3]
; %bb.329:                              ;   in Loop: Header=BB19_9 Depth=1
	v_mov_b32_e32 v3, v4
; %bb.330:                              ;   in Loop: Header=BB19_9 Depth=1
	s_or_b64 exec, exec, s[2:3]
.LBB19_331:                             ;   in Loop: Header=BB19_9 Depth=1
	s_or_b64 exec, exec, s[10:11]
.LBB19_332:                             ;   in Loop: Header=BB19_9 Depth=1
	s_andn2_saveexec_b64 s[2:3], s[8:9]
	s_or_b64 exec, exec, s[2:3]
                                        ; implicit-def: $vgpr2
.LBB19_333:                             ;   in Loop: Header=BB19_9 Depth=1
	s_andn2_saveexec_b64 s[2:3], s[6:7]
; %bb.334:                              ;   in Loop: Header=BB19_9 Depth=1
	v_or_b32_sdwa v2, v2, s40 dst_sel:DWORD dst_unused:UNUSED_PAD src0_sel:BYTE_3 src1_sel:DWORD
	v_cmp_eq_u64_e32 vcc, 0, v[10:11]
	v_cndmask_b32_e32 v3, v2, v3, vcc
; %bb.335:                              ;   in Loop: Header=BB19_9 Depth=1
	s_or_b64 exec, exec, s[2:3]
	v_add_co_u32_e32 v4, vcc, v48, v8
	v_addc_co_u32_e32 v5, vcc, 0, v49, vcc
	global_store_byte v[4:5], v3, off
.LBB19_336:                             ;   in Loop: Header=BB19_9 Depth=1
	s_or_b64 exec, exec, s[4:5]
	v_sub_u32_e32 v15, s57, v24
	v_ashrrev_i32_e32 v2, 31, v15
	v_lshrrev_b32_e32 v2, 29, v2
	v_add_u32_e32 v2, v15, v2
	v_ashrrev_i32_e32 v25, 31, v24
	v_ashrrev_i32_e32 v50, 3, v2
	v_cmp_gt_i32_e32 vcc, v50, v8
	v_lshlrev_b64 v[26:27], 1, v[24:25]
	s_and_saveexec_b64 s[4:5], vcc
	s_cbranch_execz .LBB19_467
; %bb.337:                              ;   in Loop: Header=BB19_9 Depth=1
	v_add_co_u32_e32 v6, vcc, v18, v24
	v_addc_co_u32_e32 v7, vcc, v19, v25, vcc
	v_add_co_u32_e32 v2, vcc, v26, v22
	v_addc_co_u32_e32 v3, vcc, v27, v23, vcc
	;; [unrolled: 2-line block ×3, first 2 shown]
	s_mov_b64 s[6:7], 0
	v_mov_b32_e32 v51, v8
	s_branch .LBB19_339
.LBB19_338:                             ;   in Loop: Header=BB19_339 Depth=2
	s_or_b64 exec, exec, s[2:3]
	v_lshlrev_b32_e32 v4, 16, v40
	v_lshlrev_b32_e32 v3, 24, v42
	v_and_b32_e32 v4, 0xff0000, v4
	v_or_b32_e32 v3, v3, v4
	v_lshlrev_b32_e32 v4, 8, v38
	v_and_b32_e32 v4, 0xff00, v4
	v_and_b32_e32 v5, 0xff, v36
	v_or3_b32 v3, v3, v4, v5
	v_lshlrev_b32_e32 v4, 16, v34
	v_lshlrev_b32_e32 v5, 8, v32
	v_perm_b32 v2, v2, v4, s42
	v_and_or_b32 v2, v5, s41, v2
	v_or_b32_sdwa v2, v2, v30 dst_sel:DWORD dst_unused:UNUSED_PAD src0_sel:DWORD src1_sel:BYTE_0
	global_store_dwordx2 v[6:7], v[2:3], off
	v_add_co_u32_e32 v6, vcc, 0x100, v6
	v_add_u32_e32 v51, 32, v51
	v_addc_co_u32_e32 v7, vcc, 0, v7, vcc
	v_add_co_u32_e32 v28, vcc, 0x200, v28
	v_cmp_ge_i32_e64 s[2:3], v51, v50
	s_or_b64 s[6:7], s[2:3], s[6:7]
	v_addc_co_u32_e32 v29, vcc, 0, v29, vcc
	s_andn2_b64 exec, exec, s[6:7]
	s_cbranch_execz .LBB19_467
.LBB19_339:                             ;   Parent Loop BB19_9 Depth=1
                                        ; =>  This Inner Loop Header: Depth=2
	global_load_dwordx4 v[2:5], v[28:29], off
	v_mov_b32_e32 v35, v11
	s_waitcnt vmcnt(0)
	v_lshlrev_b32_e32 v10, 16, v2
	v_div_scale_f32 v30, s[2:3], s33, s33, v10
	v_rcp_f32_e32 v31, v30
	v_div_scale_f32 v32, vcc, v10, s33, v10
	v_fma_f32 v33, -v30, v31, 1.0
	v_fmac_f32_e32 v31, v33, v31
	v_mul_f32_e32 v33, v32, v31
	v_fma_f32 v34, -v30, v33, v32
	v_fmac_f32_e32 v33, v34, v31
	v_fma_f32 v30, -v30, v33, v32
	v_div_fmas_f32 v30, v30, v31, v33
	v_div_fixup_f32 v33, v30, s33, v10
	v_and_b32_sdwa v32, v33, s58 dst_sel:DWORD dst_unused:UNUSED_PAD src0_sel:BYTE_3 src1_sel:DWORD
	v_and_b32_e32 v34, 0x7f800000, v33
	v_and_b32_e32 v10, 0x7fffff, v33
	v_or_b32_e32 v30, 0x7e, v32
	v_cmp_ne_u64_e32 vcc, s[62:63], v[34:35]
	s_and_saveexec_b64 s[2:3], vcc
	s_xor_b64 s[8:9], exec, s[2:3]
	s_cbranch_execz .LBB19_353
; %bb.340:                              ;   in Loop: Header=BB19_339 Depth=2
	v_and_b32_e32 v34, 0x7fffffff, v33
	v_mov_b32_e32 v35, v11
	v_cmp_gt_u64_e32 vcc, s[64:65], v[34:35]
	s_and_saveexec_b64 s[2:3], vcc
	s_xor_b64 s[10:11], exec, s[2:3]
	s_cbranch_execz .LBB19_352
; %bb.341:                              ;   in Loop: Header=BB19_339 Depth=2
	v_cmp_ne_u32_e32 vcc, 0, v33
	v_pk_mov_b32 v[30:31], 0, 0
	s_and_saveexec_b64 s[12:13], vcc
	s_cbranch_execz .LBB19_351
; %bb.342:                              ;   in Loop: Header=BB19_339 Depth=2
	v_bfe_u32 v30, v33, 23, 8
	v_sub_u32_e32 v33, 0x79, v30
	v_cmp_gt_u32_e32 vcc, s59, v30
	v_cndmask_b32_e32 v33, 0, v33, vcc
	v_cmp_eq_u32_e32 vcc, 0, v30
	v_cndmask_b32_e32 v33, v33, v89, vcc
	v_add_u32_e32 v31, 0xffffff81, v30
	v_or_b32_e32 v34, 0x800000, v10
	v_add_u32_e32 v30, 20, v33
	v_cndmask_b32_e32 v35, v31, v88, vcc
	v_cndmask_b32_e32 v10, v34, v10, vcc
	v_lshlrev_b64 v[30:31], v30, -1
	v_not_b32_e32 v30, v30
	v_lshrrev_b64 v[38:39], v33, v[10:11]
	v_not_b32_e32 v31, v31
	v_and_b32_e32 v30, v10, v30
	v_add_u32_e32 v34, 19, v33
	v_lshrrev_b32_e32 v10, 23, v38
	v_and_b32_e32 v31, 0, v31
	v_lshlrev_b64 v[36:37], v34, 1
	v_add3_u32 v34, v33, v35, v10
	v_bfe_u32 v10, v38, 20, 1
	v_add_u32_e32 v10, -1, v10
	v_cmp_eq_u64_e32 vcc, v[30:31], v[36:37]
	v_cndmask_b32_e32 v10, 0, v10, vcc
	v_add_u32_e32 v10, v10, v38
	v_and_b32_e32 v10, 0xfffff, v10
	v_add_co_u32_e32 v30, vcc, v10, v38
	v_add_u32_e32 v33, 6, v34
	v_addc_co_u32_e32 v31, vcc, 0, v39, vcc
	v_cmp_ne_u32_e32 vcc, 0, v33
                                        ; implicit-def: $vgpr10
	s_and_saveexec_b64 s[2:3], vcc
	s_xor_b64 s[2:3], exec, s[2:3]
; %bb.343:                              ;   in Loop: Header=BB19_339 Depth=2
	v_add_u32_e32 v10, 7, v34
	v_cmp_lt_u64_e32 vcc, s[66:67], v[30:31]
	v_cndmask_b32_e32 v10, v33, v10, vcc
	v_cndmask_b32_e64 v33, 0, 1, vcc
	v_lshrrev_b64 v[30:31], v33, v[30:31]
; %bb.344:                              ;   in Loop: Header=BB19_339 Depth=2
	s_andn2_saveexec_b64 s[2:3], s[2:3]
; %bb.345:                              ;   in Loop: Header=BB19_339 Depth=2
	v_bfe_u32 v10, v30, 23, 1
; %bb.346:                              ;   in Loop: Header=BB19_339 Depth=2
	s_or_b64 exec, exec, s[2:3]
	v_lshrrev_b64 v[30:31], 20, v[30:31]
	v_cmp_gt_i32_e32 vcc, 16, v10
	v_cndmask_b32_e32 v35, 0, v31, vcc
	v_cndmask_b32_e32 v34, 7, v30, vcc
	v_cmp_ne_u32_e32 vcc, 0, v10
	v_cmp_ne_u64_e64 s[2:3], 0, v[34:35]
	s_or_b64 s[2:3], vcc, s[2:3]
                                        ; implicit-def: $vgpr30_vgpr31
	s_and_saveexec_b64 s[14:15], s[2:3]
	s_xor_b64 s[2:3], exec, s[14:15]
; %bb.347:                              ;   in Loop: Header=BB19_339 Depth=2
	v_min_i32_e32 v10, 15, v10
	v_lshl_or_b32 v10, v10, 3, v32
	v_and_or_b32 v30, v34, 7, v10
                                        ; implicit-def: $vgpr32
; %bb.348:                              ;   in Loop: Header=BB19_339 Depth=2
	s_andn2_saveexec_b64 s[2:3], s[2:3]
; %bb.349:                              ;   in Loop: Header=BB19_339 Depth=2
	v_pk_mov_b32 v[30:31], v[32:33], v[32:33] op_sel:[0,1]
; %bb.350:                              ;   in Loop: Header=BB19_339 Depth=2
	s_or_b64 exec, exec, s[2:3]
.LBB19_351:                             ;   in Loop: Header=BB19_339 Depth=2
	s_or_b64 exec, exec, s[12:13]
.LBB19_352:                             ;   in Loop: Header=BB19_339 Depth=2
	s_andn2_saveexec_b64 s[2:3], s[10:11]
	s_or_b64 exec, exec, s[2:3]
                                        ; implicit-def: $vgpr33
.LBB19_353:                             ;   in Loop: Header=BB19_339 Depth=2
	s_andn2_saveexec_b64 s[2:3], s[8:9]
; %bb.354:                              ;   in Loop: Header=BB19_339 Depth=2
	v_or_b32_sdwa v31, v33, s40 dst_sel:DWORD dst_unused:UNUSED_PAD src0_sel:BYTE_3 src1_sel:DWORD
	v_cmp_eq_u64_e32 vcc, 0, v[10:11]
	v_cndmask_b32_e32 v30, v31, v30, vcc
; %bb.355:                              ;   in Loop: Header=BB19_339 Depth=2
	s_or_b64 exec, exec, s[2:3]
	v_and_b32_e32 v2, 0xffff0000, v2
	v_div_scale_f32 v10, s[2:3], s33, s33, v2
	v_rcp_f32_e32 v31, v10
	v_div_scale_f32 v32, vcc, v2, s33, v2
	v_mov_b32_e32 v35, v11
	v_fma_f32 v33, -v10, v31, 1.0
	v_fmac_f32_e32 v31, v33, v31
	v_mul_f32_e32 v33, v32, v31
	v_fma_f32 v34, -v10, v33, v32
	v_fmac_f32_e32 v33, v34, v31
	v_fma_f32 v10, -v10, v33, v32
	v_div_fmas_f32 v10, v10, v31, v33
	v_div_fixup_f32 v31, v10, s33, v2
	v_and_b32_sdwa v2, v31, s58 dst_sel:DWORD dst_unused:UNUSED_PAD src0_sel:BYTE_3 src1_sel:DWORD
	v_and_b32_e32 v34, 0x7f800000, v31
	v_and_b32_e32 v10, 0x7fffff, v31
	v_or_b32_e32 v32, 0x7e, v2
	v_cmp_ne_u64_e32 vcc, s[62:63], v[34:35]
	s_and_saveexec_b64 s[2:3], vcc
	s_xor_b64 s[8:9], exec, s[2:3]
	s_cbranch_execz .LBB19_369
; %bb.356:                              ;   in Loop: Header=BB19_339 Depth=2
	v_and_b32_e32 v34, 0x7fffffff, v31
	v_mov_b32_e32 v35, v11
	v_cmp_gt_u64_e32 vcc, s[64:65], v[34:35]
	s_and_saveexec_b64 s[2:3], vcc
	s_xor_b64 s[10:11], exec, s[2:3]
	s_cbranch_execz .LBB19_368
; %bb.357:                              ;   in Loop: Header=BB19_339 Depth=2
	v_cmp_ne_u32_e32 vcc, 0, v31
	v_pk_mov_b32 v[32:33], 0, 0
	s_and_saveexec_b64 s[12:13], vcc
	s_cbranch_execz .LBB19_367
; %bb.358:                              ;   in Loop: Header=BB19_339 Depth=2
	v_bfe_u32 v31, v31, 23, 8
	v_sub_u32_e32 v33, 0x79, v31
	v_cmp_gt_u32_e32 vcc, s59, v31
	v_cndmask_b32_e32 v33, 0, v33, vcc
	v_cmp_eq_u32_e32 vcc, 0, v31
	v_add_u32_e32 v32, 0xffffff81, v31
	v_cndmask_b32_e32 v35, v33, v89, vcc
	v_or_b32_e32 v34, 0x800000, v10
	v_cndmask_b32_e32 v31, v32, v88, vcc
	v_add_u32_e32 v32, 20, v35
	v_cndmask_b32_e32 v10, v34, v10, vcc
	v_lshlrev_b64 v[32:33], v32, -1
	v_not_b32_e32 v32, v32
	v_lshrrev_b64 v[38:39], v35, v[10:11]
	v_not_b32_e32 v33, v33
	v_and_b32_e32 v32, v10, v32
	v_add_u32_e32 v34, 19, v35
	v_lshrrev_b32_e32 v10, 23, v38
	v_and_b32_e32 v33, 0, v33
	v_lshlrev_b64 v[36:37], v34, 1
	v_add3_u32 v34, v35, v31, v10
	v_bfe_u32 v10, v38, 20, 1
	v_add_u32_e32 v10, -1, v10
	v_cmp_eq_u64_e32 vcc, v[32:33], v[36:37]
	v_cndmask_b32_e32 v10, 0, v10, vcc
	v_add_u32_e32 v10, v10, v38
	v_and_b32_e32 v10, 0xfffff, v10
	v_add_co_u32_e32 v32, vcc, v10, v38
	v_add_u32_e32 v31, 6, v34
	v_addc_co_u32_e32 v33, vcc, 0, v39, vcc
	v_cmp_ne_u32_e32 vcc, 0, v31
                                        ; implicit-def: $vgpr10
	s_and_saveexec_b64 s[2:3], vcc
	s_xor_b64 s[2:3], exec, s[2:3]
; %bb.359:                              ;   in Loop: Header=BB19_339 Depth=2
	v_add_u32_e32 v10, 7, v34
	v_cmp_lt_u64_e32 vcc, s[66:67], v[32:33]
	v_cndmask_b32_e32 v10, v31, v10, vcc
	v_cndmask_b32_e64 v31, 0, 1, vcc
	v_lshrrev_b64 v[32:33], v31, v[32:33]
; %bb.360:                              ;   in Loop: Header=BB19_339 Depth=2
	s_andn2_saveexec_b64 s[2:3], s[2:3]
; %bb.361:                              ;   in Loop: Header=BB19_339 Depth=2
	v_bfe_u32 v10, v32, 23, 1
; %bb.362:                              ;   in Loop: Header=BB19_339 Depth=2
	s_or_b64 exec, exec, s[2:3]
	v_lshrrev_b64 v[32:33], 20, v[32:33]
	v_cmp_gt_i32_e32 vcc, 16, v10
	v_cndmask_b32_e32 v35, 0, v33, vcc
	v_cndmask_b32_e32 v34, 7, v32, vcc
	v_cmp_ne_u32_e32 vcc, 0, v10
	v_cmp_ne_u64_e64 s[2:3], 0, v[34:35]
	s_or_b64 s[2:3], vcc, s[2:3]
                                        ; implicit-def: $vgpr32_vgpr33
	s_and_saveexec_b64 s[14:15], s[2:3]
	s_xor_b64 s[2:3], exec, s[14:15]
; %bb.363:                              ;   in Loop: Header=BB19_339 Depth=2
	v_min_i32_e32 v10, 15, v10
	v_lshl_or_b32 v2, v10, 3, v2
	v_and_or_b32 v32, v34, 7, v2
                                        ; implicit-def: $vgpr2
; %bb.364:                              ;   in Loop: Header=BB19_339 Depth=2
	s_andn2_saveexec_b64 s[2:3], s[2:3]
; %bb.365:                              ;   in Loop: Header=BB19_339 Depth=2
	v_pk_mov_b32 v[32:33], v[2:3], v[2:3] op_sel:[0,1]
; %bb.366:                              ;   in Loop: Header=BB19_339 Depth=2
	s_or_b64 exec, exec, s[2:3]
.LBB19_367:                             ;   in Loop: Header=BB19_339 Depth=2
	s_or_b64 exec, exec, s[12:13]
.LBB19_368:                             ;   in Loop: Header=BB19_339 Depth=2
	s_andn2_saveexec_b64 s[2:3], s[10:11]
	s_or_b64 exec, exec, s[2:3]
                                        ; implicit-def: $vgpr31
.LBB19_369:                             ;   in Loop: Header=BB19_339 Depth=2
	s_andn2_saveexec_b64 s[2:3], s[8:9]
; %bb.370:                              ;   in Loop: Header=BB19_339 Depth=2
	v_or_b32_sdwa v2, v31, s40 dst_sel:DWORD dst_unused:UNUSED_PAD src0_sel:BYTE_3 src1_sel:DWORD
	v_cmp_eq_u64_e32 vcc, 0, v[10:11]
	v_cndmask_b32_e32 v32, v2, v32, vcc
; %bb.371:                              ;   in Loop: Header=BB19_339 Depth=2
	s_or_b64 exec, exec, s[2:3]
	v_lshlrev_b32_e32 v2, 16, v3
	v_div_scale_f32 v10, s[2:3], s33, s33, v2
	v_rcp_f32_e32 v31, v10
	v_div_scale_f32 v33, vcc, v2, s33, v2
	v_mov_b32_e32 v37, v11
	v_fma_f32 v34, -v10, v31, 1.0
	v_fmac_f32_e32 v31, v34, v31
	v_mul_f32_e32 v34, v33, v31
	v_fma_f32 v35, -v10, v34, v33
	v_fmac_f32_e32 v34, v35, v31
	v_fma_f32 v10, -v10, v34, v33
	v_div_fmas_f32 v10, v10, v31, v34
	v_div_fixup_f32 v31, v10, s33, v2
	v_and_b32_sdwa v2, v31, s58 dst_sel:DWORD dst_unused:UNUSED_PAD src0_sel:BYTE_3 src1_sel:DWORD
	v_and_b32_e32 v36, 0x7f800000, v31
	v_and_b32_e32 v10, 0x7fffff, v31
	v_or_b32_e32 v34, 0x7e, v2
	v_cmp_ne_u64_e32 vcc, s[62:63], v[36:37]
	s_and_saveexec_b64 s[2:3], vcc
	s_xor_b64 s[8:9], exec, s[2:3]
	s_cbranch_execz .LBB19_385
; %bb.372:                              ;   in Loop: Header=BB19_339 Depth=2
	v_and_b32_e32 v36, 0x7fffffff, v31
	v_mov_b32_e32 v37, v11
	v_cmp_gt_u64_e32 vcc, s[64:65], v[36:37]
	s_and_saveexec_b64 s[2:3], vcc
	s_xor_b64 s[10:11], exec, s[2:3]
	s_cbranch_execz .LBB19_384
; %bb.373:                              ;   in Loop: Header=BB19_339 Depth=2
	v_cmp_ne_u32_e32 vcc, 0, v31
	v_pk_mov_b32 v[34:35], 0, 0
	s_and_saveexec_b64 s[12:13], vcc
	s_cbranch_execz .LBB19_383
; %bb.374:                              ;   in Loop: Header=BB19_339 Depth=2
	v_bfe_u32 v31, v31, 23, 8
	v_sub_u32_e32 v34, 0x79, v31
	v_cmp_gt_u32_e32 vcc, s59, v31
	v_add_u32_e32 v33, 0xffffff81, v31
	v_cndmask_b32_e32 v34, 0, v34, vcc
	v_cmp_eq_u32_e32 vcc, 0, v31
	v_cndmask_b32_e32 v31, v33, v88, vcc
	v_cndmask_b32_e32 v33, v34, v89, vcc
	v_or_b32_e32 v35, 0x800000, v10
	v_add_u32_e32 v34, 20, v33
	v_cndmask_b32_e32 v10, v35, v10, vcc
	v_lshlrev_b64 v[34:35], v34, -1
	v_not_b32_e32 v34, v34
	v_lshrrev_b64 v[38:39], v33, v[10:11]
	v_not_b32_e32 v35, v35
	v_and_b32_e32 v34, v10, v34
	v_add_u32_e32 v36, 19, v33
	v_lshrrev_b32_e32 v10, 23, v38
	v_and_b32_e32 v35, 0, v35
	v_lshlrev_b64 v[36:37], v36, 1
	v_add3_u32 v33, v33, v31, v10
	v_bfe_u32 v10, v38, 20, 1
	v_add_u32_e32 v10, -1, v10
	v_cmp_eq_u64_e32 vcc, v[34:35], v[36:37]
	v_cndmask_b32_e32 v10, 0, v10, vcc
	v_add_u32_e32 v10, v10, v38
	v_and_b32_e32 v10, 0xfffff, v10
	v_add_co_u32_e32 v34, vcc, v10, v38
	v_add_u32_e32 v31, 6, v33
	v_addc_co_u32_e32 v35, vcc, 0, v39, vcc
	v_cmp_ne_u32_e32 vcc, 0, v31
                                        ; implicit-def: $vgpr10
	s_and_saveexec_b64 s[2:3], vcc
	s_xor_b64 s[2:3], exec, s[2:3]
; %bb.375:                              ;   in Loop: Header=BB19_339 Depth=2
	v_add_u32_e32 v10, 7, v33
	v_cmp_lt_u64_e32 vcc, s[66:67], v[34:35]
	v_cndmask_b32_e32 v10, v31, v10, vcc
	v_cndmask_b32_e64 v31, 0, 1, vcc
	v_lshrrev_b64 v[34:35], v31, v[34:35]
; %bb.376:                              ;   in Loop: Header=BB19_339 Depth=2
	s_andn2_saveexec_b64 s[2:3], s[2:3]
; %bb.377:                              ;   in Loop: Header=BB19_339 Depth=2
	v_bfe_u32 v10, v34, 23, 1
; %bb.378:                              ;   in Loop: Header=BB19_339 Depth=2
	s_or_b64 exec, exec, s[2:3]
	v_lshrrev_b64 v[34:35], 20, v[34:35]
	v_cmp_gt_i32_e32 vcc, 16, v10
	v_cndmask_b32_e32 v37, 0, v35, vcc
	v_cndmask_b32_e32 v36, 7, v34, vcc
	v_cmp_ne_u32_e32 vcc, 0, v10
	v_cmp_ne_u64_e64 s[2:3], 0, v[36:37]
	s_or_b64 s[2:3], vcc, s[2:3]
                                        ; implicit-def: $vgpr34_vgpr35
	s_and_saveexec_b64 s[14:15], s[2:3]
	s_xor_b64 s[2:3], exec, s[14:15]
; %bb.379:                              ;   in Loop: Header=BB19_339 Depth=2
	v_min_i32_e32 v10, 15, v10
	v_lshl_or_b32 v2, v10, 3, v2
	v_and_or_b32 v34, v36, 7, v2
                                        ; implicit-def: $vgpr2
; %bb.380:                              ;   in Loop: Header=BB19_339 Depth=2
	s_andn2_saveexec_b64 s[2:3], s[2:3]
; %bb.381:                              ;   in Loop: Header=BB19_339 Depth=2
	v_pk_mov_b32 v[34:35], v[2:3], v[2:3] op_sel:[0,1]
; %bb.382:                              ;   in Loop: Header=BB19_339 Depth=2
	s_or_b64 exec, exec, s[2:3]
.LBB19_383:                             ;   in Loop: Header=BB19_339 Depth=2
	s_or_b64 exec, exec, s[12:13]
.LBB19_384:                             ;   in Loop: Header=BB19_339 Depth=2
	s_andn2_saveexec_b64 s[2:3], s[10:11]
	s_or_b64 exec, exec, s[2:3]
                                        ; implicit-def: $vgpr31
.LBB19_385:                             ;   in Loop: Header=BB19_339 Depth=2
	s_andn2_saveexec_b64 s[2:3], s[8:9]
; %bb.386:                              ;   in Loop: Header=BB19_339 Depth=2
	v_or_b32_sdwa v2, v31, s40 dst_sel:DWORD dst_unused:UNUSED_PAD src0_sel:BYTE_3 src1_sel:DWORD
	v_cmp_eq_u64_e32 vcc, 0, v[10:11]
	v_cndmask_b32_e32 v34, v2, v34, vcc
; %bb.387:                              ;   in Loop: Header=BB19_339 Depth=2
	s_or_b64 exec, exec, s[2:3]
	v_and_b32_e32 v2, 0xffff0000, v3
	v_div_scale_f32 v3, s[2:3], s33, s33, v2
	v_rcp_f32_e32 v10, v3
	v_div_scale_f32 v31, vcc, v2, s33, v2
	v_mov_b32_e32 v39, v11
	v_fma_f32 v33, -v3, v10, 1.0
	v_fmac_f32_e32 v10, v33, v10
	v_mul_f32_e32 v33, v31, v10
	v_fma_f32 v35, -v3, v33, v31
	v_fmac_f32_e32 v33, v35, v10
	v_fma_f32 v3, -v3, v33, v31
	v_div_fmas_f32 v3, v3, v10, v33
	v_div_fixup_f32 v31, v3, s33, v2
	v_and_b32_sdwa v36, v31, s58 dst_sel:DWORD dst_unused:UNUSED_PAD src0_sel:BYTE_3 src1_sel:DWORD
	v_and_b32_e32 v38, 0x7f800000, v31
	v_and_b32_e32 v10, 0x7fffff, v31
	v_or_b32_e32 v2, 0x7e, v36
	v_cmp_ne_u64_e32 vcc, s[62:63], v[38:39]
	s_and_saveexec_b64 s[2:3], vcc
	s_xor_b64 s[8:9], exec, s[2:3]
	s_cbranch_execz .LBB19_401
; %bb.388:                              ;   in Loop: Header=BB19_339 Depth=2
	v_and_b32_e32 v38, 0x7fffffff, v31
	v_mov_b32_e32 v39, v11
	v_cmp_gt_u64_e32 vcc, s[64:65], v[38:39]
	s_and_saveexec_b64 s[2:3], vcc
	s_xor_b64 s[10:11], exec, s[2:3]
	s_cbranch_execz .LBB19_400
; %bb.389:                              ;   in Loop: Header=BB19_339 Depth=2
	v_cmp_ne_u32_e32 vcc, 0, v31
	v_pk_mov_b32 v[2:3], 0, 0
	s_and_saveexec_b64 s[12:13], vcc
	s_cbranch_execz .LBB19_399
; %bb.390:                              ;   in Loop: Header=BB19_339 Depth=2
	v_bfe_u32 v2, v31, 23, 8
	v_sub_u32_e32 v31, 0x79, v2
	v_cmp_gt_u32_e32 vcc, s59, v2
	v_cndmask_b32_e32 v31, 0, v31, vcc
	v_cmp_eq_u32_e32 vcc, 0, v2
	v_cndmask_b32_e32 v31, v31, v89, vcc
	v_add_u32_e32 v3, 0xffffff81, v2
	v_or_b32_e32 v33, 0x800000, v10
	v_add_u32_e32 v2, 20, v31
	v_cndmask_b32_e32 v35, v3, v88, vcc
	v_cndmask_b32_e32 v10, v33, v10, vcc
	v_lshlrev_b64 v[2:3], v2, -1
	v_not_b32_e32 v2, v2
	v_lshrrev_b64 v[40:41], v31, v[10:11]
	v_not_b32_e32 v3, v3
	v_and_b32_e32 v2, v10, v2
	v_add_u32_e32 v33, 19, v31
	v_lshrrev_b32_e32 v10, 23, v40
	v_and_b32_e32 v3, 0, v3
	v_lshlrev_b64 v[38:39], v33, 1
	v_add3_u32 v33, v31, v35, v10
	v_bfe_u32 v10, v40, 20, 1
	v_add_u32_e32 v10, -1, v10
	v_cmp_eq_u64_e32 vcc, v[2:3], v[38:39]
	v_cndmask_b32_e32 v2, 0, v10, vcc
	v_add_u32_e32 v2, v2, v40
	v_and_b32_e32 v2, 0xfffff, v2
	v_add_co_u32_e32 v2, vcc, v2, v40
	v_add_u32_e32 v31, 6, v33
	v_addc_co_u32_e32 v3, vcc, 0, v41, vcc
	v_cmp_ne_u32_e32 vcc, 0, v31
                                        ; implicit-def: $vgpr10
	s_and_saveexec_b64 s[2:3], vcc
	s_xor_b64 s[2:3], exec, s[2:3]
; %bb.391:                              ;   in Loop: Header=BB19_339 Depth=2
	v_add_u32_e32 v10, 7, v33
	v_cmp_lt_u64_e32 vcc, s[66:67], v[2:3]
	v_cndmask_b32_e32 v10, v31, v10, vcc
	v_cndmask_b32_e64 v31, 0, 1, vcc
	v_lshrrev_b64 v[2:3], v31, v[2:3]
; %bb.392:                              ;   in Loop: Header=BB19_339 Depth=2
	s_andn2_saveexec_b64 s[2:3], s[2:3]
; %bb.393:                              ;   in Loop: Header=BB19_339 Depth=2
	v_bfe_u32 v10, v2, 23, 1
; %bb.394:                              ;   in Loop: Header=BB19_339 Depth=2
	s_or_b64 exec, exec, s[2:3]
	v_lshrrev_b64 v[2:3], 20, v[2:3]
	v_cmp_gt_i32_e32 vcc, 16, v10
	v_cndmask_b32_e32 v39, 0, v3, vcc
	v_cndmask_b32_e32 v38, 7, v2, vcc
	v_cmp_ne_u32_e32 vcc, 0, v10
	v_cmp_ne_u64_e64 s[2:3], 0, v[38:39]
	s_or_b64 s[2:3], vcc, s[2:3]
                                        ; implicit-def: $vgpr2_vgpr3
	s_and_saveexec_b64 s[14:15], s[2:3]
	s_xor_b64 s[2:3], exec, s[14:15]
; %bb.395:                              ;   in Loop: Header=BB19_339 Depth=2
	v_min_i32_e32 v2, 15, v10
	v_lshl_or_b32 v2, v2, 3, v36
	v_and_or_b32 v2, v38, 7, v2
                                        ; implicit-def: $vgpr36
; %bb.396:                              ;   in Loop: Header=BB19_339 Depth=2
	s_andn2_saveexec_b64 s[2:3], s[2:3]
; %bb.397:                              ;   in Loop: Header=BB19_339 Depth=2
	v_pk_mov_b32 v[2:3], v[36:37], v[36:37] op_sel:[0,1]
; %bb.398:                              ;   in Loop: Header=BB19_339 Depth=2
	s_or_b64 exec, exec, s[2:3]
.LBB19_399:                             ;   in Loop: Header=BB19_339 Depth=2
	s_or_b64 exec, exec, s[12:13]
.LBB19_400:                             ;   in Loop: Header=BB19_339 Depth=2
	s_andn2_saveexec_b64 s[2:3], s[10:11]
	s_or_b64 exec, exec, s[2:3]
                                        ; implicit-def: $vgpr31
.LBB19_401:                             ;   in Loop: Header=BB19_339 Depth=2
	s_andn2_saveexec_b64 s[2:3], s[8:9]
; %bb.402:                              ;   in Loop: Header=BB19_339 Depth=2
	v_or_b32_sdwa v3, v31, s40 dst_sel:DWORD dst_unused:UNUSED_PAD src0_sel:BYTE_3 src1_sel:DWORD
	v_cmp_eq_u64_e32 vcc, 0, v[10:11]
	v_cndmask_b32_e32 v2, v3, v2, vcc
; %bb.403:                              ;   in Loop: Header=BB19_339 Depth=2
	s_or_b64 exec, exec, s[2:3]
	v_lshlrev_b32_e32 v3, 16, v4
	v_div_scale_f32 v10, s[2:3], s33, s33, v3
	v_rcp_f32_e32 v31, v10
	v_div_scale_f32 v33, vcc, v3, s33, v3
	v_mov_b32_e32 v41, v11
	v_fma_f32 v35, -v10, v31, 1.0
	v_fmac_f32_e32 v31, v35, v31
	v_mul_f32_e32 v35, v33, v31
	v_fma_f32 v36, -v10, v35, v33
	v_fmac_f32_e32 v35, v36, v31
	v_fma_f32 v10, -v10, v35, v33
	v_div_fmas_f32 v10, v10, v31, v35
	v_div_fixup_f32 v3, v10, s33, v3
	v_and_b32_sdwa v38, v3, s58 dst_sel:DWORD dst_unused:UNUSED_PAD src0_sel:BYTE_3 src1_sel:DWORD
	v_and_b32_e32 v40, 0x7f800000, v3
	v_and_b32_e32 v10, 0x7fffff, v3
	v_or_b32_e32 v36, 0x7e, v38
	v_cmp_ne_u64_e32 vcc, s[62:63], v[40:41]
	s_and_saveexec_b64 s[2:3], vcc
	s_xor_b64 s[8:9], exec, s[2:3]
	s_cbranch_execz .LBB19_417
; %bb.404:                              ;   in Loop: Header=BB19_339 Depth=2
	v_and_b32_e32 v40, 0x7fffffff, v3
	v_mov_b32_e32 v41, v11
	v_cmp_gt_u64_e32 vcc, s[64:65], v[40:41]
	s_and_saveexec_b64 s[2:3], vcc
	s_xor_b64 s[10:11], exec, s[2:3]
	s_cbranch_execz .LBB19_416
; %bb.405:                              ;   in Loop: Header=BB19_339 Depth=2
	v_cmp_ne_u32_e32 vcc, 0, v3
	v_pk_mov_b32 v[36:37], 0, 0
	s_and_saveexec_b64 s[12:13], vcc
	s_cbranch_execz .LBB19_415
; %bb.406:                              ;   in Loop: Header=BB19_339 Depth=2
	v_bfe_u32 v3, v3, 23, 8
	v_sub_u32_e32 v33, 0x79, v3
	v_cmp_gt_u32_e32 vcc, s59, v3
	v_add_u32_e32 v31, 0xffffff81, v3
	v_cndmask_b32_e32 v33, 0, v33, vcc
	v_cmp_eq_u32_e32 vcc, 0, v3
	v_cndmask_b32_e32 v3, v31, v88, vcc
	v_cndmask_b32_e32 v31, v33, v89, vcc
	v_or_b32_e32 v35, 0x800000, v10
	v_add_u32_e32 v33, 20, v31
	v_cndmask_b32_e32 v10, v35, v10, vcc
	v_lshlrev_b64 v[36:37], v33, -1
	v_not_b32_e32 v33, v37
	v_not_b32_e32 v35, v36
	v_lshrrev_b64 v[42:43], v31, v[10:11]
	v_and_b32_e32 v37, 0, v33
	v_and_b32_e32 v36, v10, v35
	v_add_u32_e32 v33, 19, v31
	v_lshrrev_b32_e32 v10, 23, v42
	v_lshlrev_b64 v[40:41], v33, 1
	v_add3_u32 v31, v31, v3, v10
	v_bfe_u32 v3, v42, 20, 1
	v_add_u32_e32 v3, -1, v3
	v_cmp_eq_u64_e32 vcc, v[36:37], v[40:41]
	v_cndmask_b32_e32 v3, 0, v3, vcc
	v_add_u32_e32 v3, v3, v42
	v_and_b32_e32 v3, 0xfffff, v3
	v_add_co_u32_e32 v36, vcc, v3, v42
	v_add_u32_e32 v10, 6, v31
	v_addc_co_u32_e32 v37, vcc, 0, v43, vcc
	v_cmp_ne_u32_e32 vcc, 0, v10
                                        ; implicit-def: $vgpr3
	s_and_saveexec_b64 s[2:3], vcc
	s_xor_b64 s[2:3], exec, s[2:3]
; %bb.407:                              ;   in Loop: Header=BB19_339 Depth=2
	v_add_u32_e32 v3, 7, v31
	v_cmp_lt_u64_e32 vcc, s[66:67], v[36:37]
	v_cndmask_b32_e32 v3, v10, v3, vcc
	v_cndmask_b32_e64 v10, 0, 1, vcc
	v_lshrrev_b64 v[36:37], v10, v[36:37]
; %bb.408:                              ;   in Loop: Header=BB19_339 Depth=2
	s_andn2_saveexec_b64 s[2:3], s[2:3]
; %bb.409:                              ;   in Loop: Header=BB19_339 Depth=2
	v_bfe_u32 v3, v36, 23, 1
; %bb.410:                              ;   in Loop: Header=BB19_339 Depth=2
	s_or_b64 exec, exec, s[2:3]
	v_lshrrev_b64 v[36:37], 20, v[36:37]
	v_cmp_gt_i32_e32 vcc, 16, v3
	v_cndmask_b32_e32 v41, 0, v37, vcc
	v_cndmask_b32_e32 v40, 7, v36, vcc
	v_cmp_ne_u32_e32 vcc, 0, v3
	v_cmp_ne_u64_e64 s[2:3], 0, v[40:41]
	s_or_b64 s[2:3], vcc, s[2:3]
                                        ; implicit-def: $vgpr36_vgpr37
	s_and_saveexec_b64 s[14:15], s[2:3]
	s_xor_b64 s[2:3], exec, s[14:15]
; %bb.411:                              ;   in Loop: Header=BB19_339 Depth=2
	v_min_i32_e32 v3, 15, v3
	v_lshl_or_b32 v3, v3, 3, v38
	v_and_or_b32 v36, v40, 7, v3
                                        ; implicit-def: $vgpr38
; %bb.412:                              ;   in Loop: Header=BB19_339 Depth=2
	s_andn2_saveexec_b64 s[2:3], s[2:3]
; %bb.413:                              ;   in Loop: Header=BB19_339 Depth=2
	v_pk_mov_b32 v[36:37], v[38:39], v[38:39] op_sel:[0,1]
; %bb.414:                              ;   in Loop: Header=BB19_339 Depth=2
	s_or_b64 exec, exec, s[2:3]
.LBB19_415:                             ;   in Loop: Header=BB19_339 Depth=2
	s_or_b64 exec, exec, s[12:13]
.LBB19_416:                             ;   in Loop: Header=BB19_339 Depth=2
	s_andn2_saveexec_b64 s[2:3], s[10:11]
	s_or_b64 exec, exec, s[2:3]
                                        ; implicit-def: $vgpr3
.LBB19_417:                             ;   in Loop: Header=BB19_339 Depth=2
	s_andn2_saveexec_b64 s[2:3], s[8:9]
; %bb.418:                              ;   in Loop: Header=BB19_339 Depth=2
	v_or_b32_sdwa v3, v3, s40 dst_sel:DWORD dst_unused:UNUSED_PAD src0_sel:BYTE_3 src1_sel:DWORD
	v_cmp_eq_u64_e32 vcc, 0, v[10:11]
	v_cndmask_b32_e32 v36, v3, v36, vcc
; %bb.419:                              ;   in Loop: Header=BB19_339 Depth=2
	s_or_b64 exec, exec, s[2:3]
	v_and_b32_e32 v3, 0xffff0000, v4
	v_div_scale_f32 v4, s[2:3], s33, s33, v3
	v_rcp_f32_e32 v10, v4
	v_div_scale_f32 v31, vcc, v3, s33, v3
	v_mov_b32_e32 v41, v11
	v_fma_f32 v33, -v4, v10, 1.0
	v_fmac_f32_e32 v10, v33, v10
	v_mul_f32_e32 v33, v31, v10
	v_fma_f32 v35, -v4, v33, v31
	v_fmac_f32_e32 v33, v35, v10
	v_fma_f32 v4, -v4, v33, v31
	v_div_fmas_f32 v4, v4, v10, v33
	v_div_fixup_f32 v3, v4, s33, v3
	v_and_b32_sdwa v4, v3, s58 dst_sel:DWORD dst_unused:UNUSED_PAD src0_sel:BYTE_3 src1_sel:DWORD
	v_and_b32_e32 v40, 0x7f800000, v3
	v_and_b32_e32 v10, 0x7fffff, v3
	v_or_b32_e32 v38, 0x7e, v4
	v_cmp_ne_u64_e32 vcc, s[62:63], v[40:41]
	s_and_saveexec_b64 s[2:3], vcc
	s_xor_b64 s[8:9], exec, s[2:3]
	s_cbranch_execz .LBB19_433
; %bb.420:                              ;   in Loop: Header=BB19_339 Depth=2
	v_and_b32_e32 v40, 0x7fffffff, v3
	v_mov_b32_e32 v41, v11
	v_cmp_gt_u64_e32 vcc, s[64:65], v[40:41]
	s_and_saveexec_b64 s[2:3], vcc
	s_xor_b64 s[10:11], exec, s[2:3]
	s_cbranch_execz .LBB19_432
; %bb.421:                              ;   in Loop: Header=BB19_339 Depth=2
	v_cmp_ne_u32_e32 vcc, 0, v3
	v_pk_mov_b32 v[38:39], 0, 0
	s_and_saveexec_b64 s[12:13], vcc
	s_cbranch_execz .LBB19_431
; %bb.422:                              ;   in Loop: Header=BB19_339 Depth=2
	v_bfe_u32 v3, v3, 23, 8
	v_sub_u32_e32 v33, 0x79, v3
	v_cmp_gt_u32_e32 vcc, s59, v3
	v_add_u32_e32 v31, 0xffffff81, v3
	v_cndmask_b32_e32 v33, 0, v33, vcc
	v_cmp_eq_u32_e32 vcc, 0, v3
	v_cndmask_b32_e32 v3, v31, v88, vcc
	v_cndmask_b32_e32 v31, v33, v89, vcc
	v_or_b32_e32 v35, 0x800000, v10
	v_add_u32_e32 v33, 20, v31
	v_cndmask_b32_e32 v10, v35, v10, vcc
	v_lshlrev_b64 v[38:39], v33, -1
	v_not_b32_e32 v33, v39
	v_not_b32_e32 v35, v38
	v_lshrrev_b64 v[42:43], v31, v[10:11]
	v_and_b32_e32 v39, 0, v33
	v_and_b32_e32 v38, v10, v35
	v_add_u32_e32 v33, 19, v31
	v_lshrrev_b32_e32 v10, 23, v42
	v_lshlrev_b64 v[40:41], v33, 1
	v_add3_u32 v31, v31, v3, v10
	v_bfe_u32 v3, v42, 20, 1
	v_add_u32_e32 v3, -1, v3
	v_cmp_eq_u64_e32 vcc, v[38:39], v[40:41]
	v_cndmask_b32_e32 v3, 0, v3, vcc
	v_add_u32_e32 v3, v3, v42
	v_and_b32_e32 v3, 0xfffff, v3
	v_add_co_u32_e32 v38, vcc, v3, v42
	v_add_u32_e32 v10, 6, v31
	v_addc_co_u32_e32 v39, vcc, 0, v43, vcc
	v_cmp_ne_u32_e32 vcc, 0, v10
                                        ; implicit-def: $vgpr3
	s_and_saveexec_b64 s[2:3], vcc
	s_xor_b64 s[2:3], exec, s[2:3]
; %bb.423:                              ;   in Loop: Header=BB19_339 Depth=2
	v_add_u32_e32 v3, 7, v31
	v_cmp_lt_u64_e32 vcc, s[66:67], v[38:39]
	v_cndmask_b32_e32 v3, v10, v3, vcc
	v_cndmask_b32_e64 v10, 0, 1, vcc
	v_lshrrev_b64 v[38:39], v10, v[38:39]
; %bb.424:                              ;   in Loop: Header=BB19_339 Depth=2
	s_andn2_saveexec_b64 s[2:3], s[2:3]
; %bb.425:                              ;   in Loop: Header=BB19_339 Depth=2
	v_bfe_u32 v3, v38, 23, 1
; %bb.426:                              ;   in Loop: Header=BB19_339 Depth=2
	s_or_b64 exec, exec, s[2:3]
	v_lshrrev_b64 v[38:39], 20, v[38:39]
	v_cmp_gt_i32_e32 vcc, 16, v3
	v_cndmask_b32_e32 v41, 0, v39, vcc
	v_cndmask_b32_e32 v40, 7, v38, vcc
	v_cmp_ne_u32_e32 vcc, 0, v3
	v_cmp_ne_u64_e64 s[2:3], 0, v[40:41]
	s_or_b64 s[2:3], vcc, s[2:3]
                                        ; implicit-def: $vgpr38_vgpr39
	s_and_saveexec_b64 s[14:15], s[2:3]
	s_xor_b64 s[2:3], exec, s[14:15]
; %bb.427:                              ;   in Loop: Header=BB19_339 Depth=2
	v_min_i32_e32 v3, 15, v3
	v_lshl_or_b32 v3, v3, 3, v4
	v_and_or_b32 v38, v40, 7, v3
                                        ; implicit-def: $vgpr4
; %bb.428:                              ;   in Loop: Header=BB19_339 Depth=2
	s_andn2_saveexec_b64 s[2:3], s[2:3]
; %bb.429:                              ;   in Loop: Header=BB19_339 Depth=2
	v_pk_mov_b32 v[38:39], v[4:5], v[4:5] op_sel:[0,1]
; %bb.430:                              ;   in Loop: Header=BB19_339 Depth=2
	s_or_b64 exec, exec, s[2:3]
.LBB19_431:                             ;   in Loop: Header=BB19_339 Depth=2
	s_or_b64 exec, exec, s[12:13]
.LBB19_432:                             ;   in Loop: Header=BB19_339 Depth=2
	s_andn2_saveexec_b64 s[2:3], s[10:11]
	s_or_b64 exec, exec, s[2:3]
                                        ; implicit-def: $vgpr3
.LBB19_433:                             ;   in Loop: Header=BB19_339 Depth=2
	s_andn2_saveexec_b64 s[2:3], s[8:9]
; %bb.434:                              ;   in Loop: Header=BB19_339 Depth=2
	v_or_b32_sdwa v3, v3, s40 dst_sel:DWORD dst_unused:UNUSED_PAD src0_sel:BYTE_3 src1_sel:DWORD
	v_cmp_eq_u64_e32 vcc, 0, v[10:11]
	v_cndmask_b32_e32 v38, v3, v38, vcc
; %bb.435:                              ;   in Loop: Header=BB19_339 Depth=2
	s_or_b64 exec, exec, s[2:3]
	v_lshlrev_b32_e32 v3, 16, v5
	v_div_scale_f32 v4, s[2:3], s33, s33, v3
	v_rcp_f32_e32 v10, v4
	v_div_scale_f32 v31, vcc, v3, s33, v3
	v_mov_b32_e32 v43, v11
	v_fma_f32 v33, -v4, v10, 1.0
	v_fmac_f32_e32 v10, v33, v10
	v_mul_f32_e32 v33, v31, v10
	v_fma_f32 v35, -v4, v33, v31
	v_fmac_f32_e32 v33, v35, v10
	v_fma_f32 v4, -v4, v33, v31
	v_div_fmas_f32 v4, v4, v10, v33
	v_div_fixup_f32 v3, v4, s33, v3
	v_and_b32_sdwa v4, v3, s58 dst_sel:DWORD dst_unused:UNUSED_PAD src0_sel:BYTE_3 src1_sel:DWORD
	v_and_b32_e32 v42, 0x7f800000, v3
	v_and_b32_e32 v10, 0x7fffff, v3
	v_or_b32_e32 v40, 0x7e, v4
	v_cmp_ne_u64_e32 vcc, s[62:63], v[42:43]
	s_and_saveexec_b64 s[2:3], vcc
	s_xor_b64 s[8:9], exec, s[2:3]
	s_cbranch_execz .LBB19_449
; %bb.436:                              ;   in Loop: Header=BB19_339 Depth=2
	v_and_b32_e32 v42, 0x7fffffff, v3
	v_mov_b32_e32 v43, v11
	v_cmp_gt_u64_e32 vcc, s[64:65], v[42:43]
	s_and_saveexec_b64 s[2:3], vcc
	s_xor_b64 s[10:11], exec, s[2:3]
	s_cbranch_execz .LBB19_448
; %bb.437:                              ;   in Loop: Header=BB19_339 Depth=2
	v_cmp_ne_u32_e32 vcc, 0, v3
	v_pk_mov_b32 v[40:41], 0, 0
	s_and_saveexec_b64 s[12:13], vcc
	s_cbranch_execz .LBB19_447
; %bb.438:                              ;   in Loop: Header=BB19_339 Depth=2
	v_bfe_u32 v3, v3, 23, 8
	v_sub_u32_e32 v33, 0x79, v3
	v_cmp_gt_u32_e32 vcc, s59, v3
	v_add_u32_e32 v31, 0xffffff81, v3
	v_cndmask_b32_e32 v33, 0, v33, vcc
	v_cmp_eq_u32_e32 vcc, 0, v3
	v_cndmask_b32_e32 v3, v31, v88, vcc
	v_cndmask_b32_e32 v31, v33, v89, vcc
	v_or_b32_e32 v35, 0x800000, v10
	v_add_u32_e32 v33, 20, v31
	v_cndmask_b32_e32 v10, v35, v10, vcc
	v_lshlrev_b64 v[40:41], v33, -1
	v_not_b32_e32 v33, v41
	v_not_b32_e32 v35, v40
	v_lshrrev_b64 v[44:45], v31, v[10:11]
	v_and_b32_e32 v41, 0, v33
	v_and_b32_e32 v40, v10, v35
	v_add_u32_e32 v33, 19, v31
	v_lshrrev_b32_e32 v10, 23, v44
	v_lshlrev_b64 v[42:43], v33, 1
	v_add3_u32 v31, v31, v3, v10
	v_bfe_u32 v3, v44, 20, 1
	v_add_u32_e32 v3, -1, v3
	v_cmp_eq_u64_e32 vcc, v[40:41], v[42:43]
	v_cndmask_b32_e32 v3, 0, v3, vcc
	v_add_u32_e32 v3, v3, v44
	v_and_b32_e32 v3, 0xfffff, v3
	v_add_co_u32_e32 v40, vcc, v3, v44
	v_add_u32_e32 v10, 6, v31
	v_addc_co_u32_e32 v41, vcc, 0, v45, vcc
	v_cmp_ne_u32_e32 vcc, 0, v10
                                        ; implicit-def: $vgpr3
	s_and_saveexec_b64 s[2:3], vcc
	s_xor_b64 s[2:3], exec, s[2:3]
; %bb.439:                              ;   in Loop: Header=BB19_339 Depth=2
	v_add_u32_e32 v3, 7, v31
	v_cmp_lt_u64_e32 vcc, s[66:67], v[40:41]
	v_cndmask_b32_e32 v3, v10, v3, vcc
	v_cndmask_b32_e64 v10, 0, 1, vcc
	v_lshrrev_b64 v[40:41], v10, v[40:41]
; %bb.440:                              ;   in Loop: Header=BB19_339 Depth=2
	s_andn2_saveexec_b64 s[2:3], s[2:3]
; %bb.441:                              ;   in Loop: Header=BB19_339 Depth=2
	v_bfe_u32 v3, v40, 23, 1
; %bb.442:                              ;   in Loop: Header=BB19_339 Depth=2
	s_or_b64 exec, exec, s[2:3]
	v_lshrrev_b64 v[40:41], 20, v[40:41]
	v_cmp_gt_i32_e32 vcc, 16, v3
	v_cndmask_b32_e32 v43, 0, v41, vcc
	v_cndmask_b32_e32 v42, 7, v40, vcc
	v_cmp_ne_u32_e32 vcc, 0, v3
	v_cmp_ne_u64_e64 s[2:3], 0, v[42:43]
	s_or_b64 s[2:3], vcc, s[2:3]
                                        ; implicit-def: $vgpr40_vgpr41
	s_and_saveexec_b64 s[14:15], s[2:3]
	s_xor_b64 s[2:3], exec, s[14:15]
; %bb.443:                              ;   in Loop: Header=BB19_339 Depth=2
	v_min_i32_e32 v3, 15, v3
	v_lshl_or_b32 v3, v3, 3, v4
	v_and_or_b32 v40, v42, 7, v3
                                        ; implicit-def: $vgpr4
; %bb.444:                              ;   in Loop: Header=BB19_339 Depth=2
	s_andn2_saveexec_b64 s[2:3], s[2:3]
; %bb.445:                              ;   in Loop: Header=BB19_339 Depth=2
	v_pk_mov_b32 v[40:41], v[4:5], v[4:5] op_sel:[0,1]
; %bb.446:                              ;   in Loop: Header=BB19_339 Depth=2
	s_or_b64 exec, exec, s[2:3]
.LBB19_447:                             ;   in Loop: Header=BB19_339 Depth=2
	s_or_b64 exec, exec, s[12:13]
.LBB19_448:                             ;   in Loop: Header=BB19_339 Depth=2
	s_andn2_saveexec_b64 s[2:3], s[10:11]
	s_or_b64 exec, exec, s[2:3]
                                        ; implicit-def: $vgpr3
.LBB19_449:                             ;   in Loop: Header=BB19_339 Depth=2
	s_andn2_saveexec_b64 s[2:3], s[8:9]
; %bb.450:                              ;   in Loop: Header=BB19_339 Depth=2
	v_or_b32_sdwa v3, v3, s40 dst_sel:DWORD dst_unused:UNUSED_PAD src0_sel:BYTE_3 src1_sel:DWORD
	v_cmp_eq_u64_e32 vcc, 0, v[10:11]
	v_cndmask_b32_e32 v40, v3, v40, vcc
; %bb.451:                              ;   in Loop: Header=BB19_339 Depth=2
	s_or_b64 exec, exec, s[2:3]
	v_and_b32_e32 v3, 0xffff0000, v5
	v_div_scale_f32 v4, s[2:3], s33, s33, v3
	v_rcp_f32_e32 v5, v4
	v_div_scale_f32 v10, vcc, v3, s33, v3
	v_mov_b32_e32 v45, v11
	v_fma_f32 v31, -v4, v5, 1.0
	v_fmac_f32_e32 v5, v31, v5
	v_mul_f32_e32 v31, v10, v5
	v_fma_f32 v33, -v4, v31, v10
	v_fmac_f32_e32 v31, v33, v5
	v_fma_f32 v4, -v4, v31, v10
	v_div_fmas_f32 v4, v4, v5, v31
	v_div_fixup_f32 v3, v4, s33, v3
	v_and_b32_sdwa v4, v3, s58 dst_sel:DWORD dst_unused:UNUSED_PAD src0_sel:BYTE_3 src1_sel:DWORD
	v_and_b32_e32 v44, 0x7f800000, v3
	v_and_b32_e32 v10, 0x7fffff, v3
	v_or_b32_e32 v42, 0x7e, v4
	v_cmp_ne_u64_e32 vcc, s[62:63], v[44:45]
	s_and_saveexec_b64 s[2:3], vcc
	s_xor_b64 s[8:9], exec, s[2:3]
	s_cbranch_execz .LBB19_465
; %bb.452:                              ;   in Loop: Header=BB19_339 Depth=2
	v_and_b32_e32 v44, 0x7fffffff, v3
	v_mov_b32_e32 v45, v11
	v_cmp_gt_u64_e32 vcc, s[64:65], v[44:45]
	s_and_saveexec_b64 s[2:3], vcc
	s_xor_b64 s[10:11], exec, s[2:3]
	s_cbranch_execz .LBB19_464
; %bb.453:                              ;   in Loop: Header=BB19_339 Depth=2
	v_cmp_ne_u32_e32 vcc, 0, v3
	v_pk_mov_b32 v[42:43], 0, 0
	s_and_saveexec_b64 s[12:13], vcc
	s_cbranch_execz .LBB19_463
; %bb.454:                              ;   in Loop: Header=BB19_339 Depth=2
	v_bfe_u32 v3, v3, 23, 8
	v_sub_u32_e32 v31, 0x79, v3
	v_cmp_gt_u32_e32 vcc, s59, v3
	v_add_u32_e32 v5, 0xffffff81, v3
	v_cndmask_b32_e32 v31, 0, v31, vcc
	v_cmp_eq_u32_e32 vcc, 0, v3
	v_cndmask_b32_e32 v3, v5, v88, vcc
	v_cndmask_b32_e32 v5, v31, v89, vcc
	v_or_b32_e32 v33, 0x800000, v10
	v_add_u32_e32 v31, 20, v5
	v_cndmask_b32_e32 v10, v33, v10, vcc
	v_lshlrev_b64 v[42:43], v31, -1
	v_not_b32_e32 v31, v43
	v_not_b32_e32 v33, v42
	v_lshrrev_b64 v[52:53], v5, v[10:11]
	v_and_b32_e32 v43, 0, v31
	v_and_b32_e32 v42, v10, v33
	v_add_u32_e32 v31, 19, v5
	v_lshrrev_b32_e32 v10, 23, v52
	v_lshlrev_b64 v[44:45], v31, 1
	v_add3_u32 v10, v5, v3, v10
	v_bfe_u32 v3, v52, 20, 1
	v_add_u32_e32 v3, -1, v3
	v_cmp_eq_u64_e32 vcc, v[42:43], v[44:45]
	v_cndmask_b32_e32 v3, 0, v3, vcc
	v_add_u32_e32 v3, v3, v52
	v_and_b32_e32 v3, 0xfffff, v3
	v_add_co_u32_e32 v42, vcc, v3, v52
	v_add_u32_e32 v5, 6, v10
	v_addc_co_u32_e32 v43, vcc, 0, v53, vcc
	v_cmp_ne_u32_e32 vcc, 0, v5
                                        ; implicit-def: $vgpr3
	s_and_saveexec_b64 s[2:3], vcc
	s_xor_b64 s[2:3], exec, s[2:3]
; %bb.455:                              ;   in Loop: Header=BB19_339 Depth=2
	v_add_u32_e32 v3, 7, v10
	v_cmp_lt_u64_e32 vcc, s[66:67], v[42:43]
	v_cndmask_b32_e32 v3, v5, v3, vcc
	v_cndmask_b32_e64 v5, 0, 1, vcc
	v_lshrrev_b64 v[42:43], v5, v[42:43]
; %bb.456:                              ;   in Loop: Header=BB19_339 Depth=2
	s_andn2_saveexec_b64 s[2:3], s[2:3]
; %bb.457:                              ;   in Loop: Header=BB19_339 Depth=2
	v_bfe_u32 v3, v42, 23, 1
; %bb.458:                              ;   in Loop: Header=BB19_339 Depth=2
	s_or_b64 exec, exec, s[2:3]
	v_lshrrev_b64 v[42:43], 20, v[42:43]
	v_cmp_gt_i32_e32 vcc, 16, v3
	v_cndmask_b32_e32 v45, 0, v43, vcc
	v_cndmask_b32_e32 v44, 7, v42, vcc
	v_cmp_ne_u32_e32 vcc, 0, v3
	v_cmp_ne_u64_e64 s[2:3], 0, v[44:45]
	s_or_b64 s[2:3], vcc, s[2:3]
                                        ; implicit-def: $vgpr42_vgpr43
	s_and_saveexec_b64 s[14:15], s[2:3]
	s_xor_b64 s[2:3], exec, s[14:15]
; %bb.459:                              ;   in Loop: Header=BB19_339 Depth=2
	v_min_i32_e32 v3, 15, v3
	v_lshl_or_b32 v3, v3, 3, v4
	v_and_or_b32 v42, v44, 7, v3
                                        ; implicit-def: $vgpr4
; %bb.460:                              ;   in Loop: Header=BB19_339 Depth=2
	s_andn2_saveexec_b64 s[2:3], s[2:3]
; %bb.461:                              ;   in Loop: Header=BB19_339 Depth=2
	v_pk_mov_b32 v[42:43], v[4:5], v[4:5] op_sel:[0,1]
; %bb.462:                              ;   in Loop: Header=BB19_339 Depth=2
	s_or_b64 exec, exec, s[2:3]
.LBB19_463:                             ;   in Loop: Header=BB19_339 Depth=2
	s_or_b64 exec, exec, s[12:13]
.LBB19_464:                             ;   in Loop: Header=BB19_339 Depth=2
	s_andn2_saveexec_b64 s[2:3], s[10:11]
	s_or_b64 exec, exec, s[2:3]
                                        ; implicit-def: $vgpr3
.LBB19_465:                             ;   in Loop: Header=BB19_339 Depth=2
	s_andn2_saveexec_b64 s[2:3], s[8:9]
	s_cbranch_execz .LBB19_338
; %bb.466:                              ;   in Loop: Header=BB19_339 Depth=2
	v_or_b32_sdwa v3, v3, s40 dst_sel:DWORD dst_unused:UNUSED_PAD src0_sel:BYTE_3 src1_sel:DWORD
	v_cmp_eq_u64_e32 vcc, 0, v[10:11]
	v_cndmask_b32_e32 v42, v3, v42, vcc
	s_branch .LBB19_338
.LBB19_467:                             ;   in Loop: Header=BB19_9 Depth=1
	s_or_b64 exec, exec, s[4:5]
	v_lshlrev_b32_e32 v3, 3, v50
	v_add_u32_e32 v2, v3, v8
	v_cmp_lt_i32_e32 vcc, v2, v15
	s_and_saveexec_b64 s[72:73], vcc
	s_cbranch_execz .LBB19_491
; %bb.468:                              ;   in Loop: Header=BB19_9 Depth=1
	v_add_u32_e32 v4, v82, v3
	v_max_i32_e32 v4, v4, v15
	v_add_u32_e32 v4, v4, v21
	v_sub_u32_e32 v3, v4, v3
	v_cmp_lt_u32_e32 vcc, s21, v3
	s_mov_b64 s[2:3], -1
	s_and_saveexec_b64 s[74:75], vcc
	s_cbranch_execz .LBB19_472
; %bb.469:                              ;   in Loop: Header=BB19_9 Depth=1
	v_lshrrev_b32_e32 v3, 5, v3
	v_add_co_u32_e32 v91, vcc, v46, v26
	v_add_u32_e32 v90, 1, v3
	v_addc_co_u32_e32 v93, vcc, v47, v27, vcc
	v_add_u32_e32 v5, 0x60, v2
	v_add_u32_e32 v4, 64, v2
	v_add_co_u32_e32 v94, vcc, v48, v24
	v_and_b32_e32 v92, 0xffffffc, v90
	v_add_u32_e32 v3, 32, v2
	v_pk_mov_b32 v[6:7], v[4:5], v[4:5] op_sel:[0,1]
	v_addc_co_u32_e32 v95, vcc, v49, v25, vcc
	s_mov_b64 s[76:77], 0
	v_mov_b32_e32 v96, v92
	v_pk_mov_b32 v[4:5], v[2:3], v[2:3] op_sel:[0,1]
.LBB19_470:                             ;   Parent Loop BB19_9 Depth=1
                                        ; =>  This Inner Loop Header: Depth=2
	v_ashrrev_i32_e32 v53, 31, v7
	v_ashrrev_i32_e32 v57, 31, v6
	;; [unrolled: 1-line block ×4, first 2 shown]
	v_mov_b32_e32 v66, v4
	v_add_co_u32_e32 v28, vcc, v94, v5
	v_add_co_u32_e64 v30, s[2:3], v94, v6
	v_add_co_u32_e64 v32, s[4:5], v94, v7
	;; [unrolled: 1-line block ×3, first 2 shown]
	v_addc_co_u32_e64 v43, s[6:7], v95, v67, s[6:7]
	v_addc_co_u32_e32 v29, vcc, v95, v63, vcc
	v_addc_co_u32_e64 v31, vcc, v95, v57, s[2:3]
	v_addc_co_u32_e64 v33, vcc, v95, v53, s[4:5]
	v_lshlrev_b64 v[66:67], 1, v[66:67]
	v_mov_b32_e32 v62, v5
	v_add_co_u32_e32 v66, vcc, v91, v66
	v_lshlrev_b64 v[62:63], 1, v[62:63]
	v_addc_co_u32_e32 v67, vcc, v93, v67, vcc
	v_mov_b32_e32 v56, v6
	v_add_co_u32_e32 v62, vcc, v91, v62
	v_lshlrev_b64 v[56:57], 1, v[56:57]
	v_addc_co_u32_e32 v63, vcc, v93, v63, vcc
	;; [unrolled: 4-line block ×3, first 2 shown]
	v_add_co_u32_e32 v52, vcc, v91, v52
	v_addc_co_u32_e32 v53, vcc, v93, v53, vcc
	global_load_ushort v3, v[66:67], off
	global_load_ushort v10, v[62:63], off
	;; [unrolled: 1-line block ×4, first 2 shown]
	v_mov_b32_e32 v75, v11
	v_mov_b32_e32 v79, v11
	;; [unrolled: 1-line block ×19, first 2 shown]
	v_add_u32_e32 v96, -4, v96
	v_cmp_eq_u32_e64 s[2:3], 0, v96
	v_add_u32_e32 v7, 0x80, v7
	v_add_u32_e32 v6, 0x80, v6
	;; [unrolled: 1-line block ×4, first 2 shown]
	s_waitcnt vmcnt(3)
	v_lshlrev_b32_e32 v38, 16, v3
	s_waitcnt vmcnt(2)
	v_lshlrev_b32_e32 v10, 16, v10
	;; [unrolled: 2-line block ×4, first 2 shown]
	v_div_scale_f32 v36, s[4:5], s87, s87, v34
	v_div_scale_f32 v44, s[4:5], s49, s49, v3
	v_rcp_f32_e32 v54, v36
	v_div_scale_f32 v52, s[8:9], s33, s33, v38
	v_rcp_f32_e32 v56, v44
	;; [unrolled: 2-line block ×3, first 2 shown]
	v_rcp_f32_e32 v57, v48
	v_fma_f32 v60, -v36, v54, 1.0
	v_div_scale_f32 v40, vcc, v34, s87, v34
	v_fma_f32 v62, -v44, v56, 1.0
	v_fmac_f32_e32 v54, v60, v54
	v_div_scale_f32 v46, s[4:5], v3, s49, v3
	v_fma_f32 v64, -v52, v58, 1.0
	v_fmac_f32_e32 v56, v62, v56
	v_mul_f32_e32 v60, v40, v54
	v_fma_f32 v63, -v48, v57, 1.0
	v_fmac_f32_e32 v58, v64, v58
	v_mul_f32_e32 v62, v46, v56
	v_fma_f32 v64, -v36, v60, v40
	v_div_scale_f32 v50, s[6:7], v10, s48, v10
	v_fmac_f32_e32 v57, v63, v57
	v_fma_f32 v67, -v44, v62, v46
	v_fmac_f32_e32 v60, v64, v54
	v_div_scale_f32 v53, s[8:9], v38, s33, v38
	v_mul_f32_e32 v63, v50, v57
	v_fmac_f32_e32 v62, v67, v56
	v_fma_f32 v36, -v36, v60, v40
	v_mul_f32_e32 v66, v53, v58
	v_fma_f32 v68, -v48, v63, v50
	v_fma_f32 v40, -v44, v62, v46
	v_div_fmas_f32 v36, v36, v54, v60
	s_mov_b64 vcc, s[4:5]
	v_fma_f32 v70, -v52, v66, v53
	v_fmac_f32_e32 v63, v68, v57
	v_div_fixup_f32 v34, v36, s87, v34
	v_div_fmas_f32 v36, v40, v56, v62
	v_fmac_f32_e32 v66, v70, v58
	v_fma_f32 v44, -v48, v63, v50
	v_div_fixup_f32 v36, v36, s49, v3
	s_mov_b64 vcc, s[6:7]
	v_fma_f32 v46, -v52, v66, v53
	v_div_fmas_f32 v40, v44, v57, v63
	v_bfe_u32 v44, v34, 23, 8
	v_and_b32_e32 v78, 0x7f800000, v34
	v_and_b32_e32 v80, 0x7fffffff, v34
	s_mov_b64 vcc, s[8:9]
	v_and_b32_e32 v74, 0x7f800000, v36
	v_and_b32_e32 v76, 0x7fffffff, v36
	;; [unrolled: 1-line block ×3, first 2 shown]
	v_div_fixup_f32 v10, v40, s48, v10
	v_div_fmas_f32 v40, v46, v58, v66
	v_and_b32_e32 v46, 0x7fffff, v36
	v_bfe_u32 v48, v36, 23, 8
	v_cmp_ne_u64_e32 vcc, s[62:63], v[78:79]
	v_cmp_lt_u64_e64 s[8:9], s[68:69], v[80:81]
	v_cmp_gt_u64_e64 s[10:11], s[64:65], v[80:81]
	v_sub_u32_e32 v53, 0x79, v44
	v_cmp_gt_u32_e64 s[20:21], s59, v44
	v_cmp_ne_u64_e64 s[22:23], s[62:63], v[74:75]
	v_cmp_lt_u64_e64 s[24:25], s[68:69], v[76:77]
	v_and_b32_sdwa v3, v34, s58 dst_sel:DWORD dst_unused:UNUSED_PAD src0_sel:BYTE_3 src1_sel:DWORD
	v_cmp_eq_u32_e64 s[4:5], 0, v34
	v_cmp_ne_u32_e64 s[6:7], 0, v34
	v_and_b32_sdwa v56, v36, s58 dst_sel:DWORD dst_unused:UNUSED_PAD src0_sel:BYTE_3 src1_sel:DWORD
	v_add_u32_e32 v52, 0xffffff81, v44
	v_cmp_eq_u32_e64 s[16:17], 0, v44
	v_or_b32_e32 v54, 0x800000, v64
	v_cmp_eq_u64_e64 s[18:19], 0, v[64:65]
	v_div_fixup_f32 v38, v40, s33, v38
	v_bfe_u32 v40, v10, 23, 8
	v_and_b32_e32 v70, 0x7f800000, v10
	v_and_b32_e32 v72, 0x7fffffff, v10
	s_and_b64 s[44:45], vcc, s[10:11]
	v_sub_u32_e32 v65, 0x79, v48
	v_cndmask_b32_e64 v53, 0, v53, s[20:21]
	s_and_b64 s[46:47], vcc, s[8:9]
	v_cmp_eq_u64_e32 vcc, 0, v[46:47]
	v_cmp_gt_u32_e64 s[8:9], s59, v48
	s_and_b64 s[92:93], s[22:23], s[24:25]
	v_or_b32_sdwa v34, v34, s40 dst_sel:DWORD dst_unused:UNUSED_PAD src0_sel:BYTE_3 src1_sel:DWORD
	v_or_b32_e32 v50, 0x7e, v3
	v_cmp_eq_u32_e64 s[12:13], 0, v36
	v_cmp_ne_u32_e64 s[14:15], 0, v36
	v_or_b32_sdwa v58, v36, s40 dst_sel:DWORD dst_unused:UNUSED_PAD src0_sel:BYTE_3 src1_sel:DWORD
	v_and_b32_e32 v36, 0x7fffff, v10
	v_or_b32_e32 v63, 0x7e, v56
	v_cmp_gt_u64_e64 s[26:27], s[64:65], v[76:77]
	v_add_u32_e32 v44, 0xffffff81, v48
	v_cmp_eq_u32_e64 s[30:31], 0, v48
	v_or_b32_e32 v66, 0x800000, v46
	v_cndmask_b32_e64 v74, v52, v88, s[16:17]
	v_cndmask_b32_e64 v68, v54, v64, s[16:17]
	v_bfe_u32 v47, v38, 23, 8
	v_and_b32_e32 v48, 0x7f800000, v38
	v_cmp_ne_u64_e64 s[20:21], s[62:63], v[70:71]
	v_cmp_lt_u64_e64 s[34:35], s[68:69], v[72:73]
	v_cmp_gt_u64_e64 s[36:37], s[64:65], v[72:73]
	s_and_b64 s[78:79], s[44:45], s[6:7]
	v_sub_u32_e32 v70, 0x79, v40
	v_cndmask_b32_e64 v65, 0, v65, s[8:9]
	v_cndmask_b32_e64 v73, v53, v89, s[16:17]
	s_or_b64 s[16:17], s[46:47], s[18:19]
	s_and_b64 s[44:45], s[44:45], s[4:5]
	v_cmp_gt_u32_e64 s[4:5], s59, v40
	s_or_b64 vcc, s[92:93], vcc
	v_and_b32_sdwa v57, v10, s58 dst_sel:DWORD dst_unused:UNUSED_PAD src0_sel:BYTE_3 src1_sel:DWORD
	v_cmp_eq_u32_e64 s[10:11], 0, v10
	v_cmp_ne_u32_e64 s[28:29], 0, v10
	v_or_b32_sdwa v52, v10, s40 dst_sel:DWORD dst_unused:UNUSED_PAD src0_sel:BYTE_3 src1_sel:DWORD
	v_and_b32_e32 v10, 0x7fffff, v38
	v_and_b32_e32 v60, 0x7fffffff, v38
	s_and_b64 s[82:83], s[22:23], s[26:27]
	v_cmp_eq_u32_e64 s[6:7], 0, v40
	v_cndmask_b32_e64 v72, v44, v88, s[30:31]
	v_cndmask_b32_e64 v54, v66, v46, s[30:31]
	v_cmp_eq_u64_e64 s[8:9], 0, v[36:37]
	v_cndmask_b32_e64 v34, v34, v50, s[16:17]
	v_cmp_ne_u64_e64 s[16:17], s[62:63], v[48:49]
	v_sub_u32_e32 v48, 0x79, v47
	v_cndmask_b32_e64 v49, 0, v70, s[4:5]
	v_cndmask_b32_e64 v75, v65, v89, s[30:31]
	v_add_u32_e32 v53, 20, v73
	s_and_b64 s[30:31], s[20:21], s[34:35]
	v_cndmask_b32_e32 v58, v58, v63, vcc
	v_cmp_gt_u32_e32 vcc, s59, v47
	v_or_b32_e32 v67, 0x7e, v57
	v_add_u32_e32 v64, 0xffffff81, v40
	v_or_b32_e32 v71, 0x800000, v36
	v_cmp_lt_u64_e64 s[18:19], s[68:69], v[60:61]
	s_and_b64 s[36:37], s[20:21], s[36:37]
	s_and_b64 s[24:25], s[82:83], s[14:15]
	v_cmp_eq_u32_e64 s[14:15], 0, v47
	v_or_b32_e32 v50, 0x800000, v10
	s_and_b64 s[12:13], s[82:83], s[12:13]
	v_cndmask_b32_e32 v63, 0, v48, vcc
	v_cndmask_b32_e64 v77, v49, v89, s[6:7]
	v_lshlrev_b64 v[48:49], v53, -1
	s_or_b64 vcc, s[30:31], s[8:9]
	v_and_b32_sdwa v62, v38, s58 dst_sel:DWORD dst_unused:UNUSED_PAD src0_sel:BYTE_3 src1_sel:DWORD
	v_cmp_gt_u64_e64 s[22:23], s[64:65], v[60:61]
	v_add_u32_e32 v46, 0xffffff81, v47
	v_cndmask_b32_e64 v61, v64, v88, s[6:7]
	v_cndmask_b32_e64 v44, v71, v36, s[6:7]
	v_lshrrev_b64 v[36:37], v73, v[68:69]
	v_cmp_eq_u64_e64 s[4:5], 0, v[10:11]
	v_cndmask_b32_e64 v60, v34, 0, s[44:45]
	v_cndmask_b32_e64 v34, v50, v10, s[14:15]
	v_add_u32_e32 v50, 20, v75
	v_add_u32_e32 v49, 19, v75
	s_and_b64 s[6:7], s[16:17], s[18:19]
	v_cndmask_b32_e32 v70, v52, v67, vcc
	s_and_b64 s[8:9], s[36:37], s[10:11]
	v_cndmask_b32_e64 v10, v58, 0, s[12:13]
	v_add_u32_e32 v58, 20, v77
	v_cmp_eq_u32_e64 s[26:27], 0, v38
	v_cmp_ne_u32_e64 s[38:39], 0, v38
	v_or_b32_sdwa v38, v38, s40 dst_sel:DWORD dst_unused:UNUSED_PAD src0_sel:BYTE_3 src1_sel:DWORD
	v_or_b32_e32 v40, 0x7e, v62
	v_add_u32_e32 v64, 19, v73
	s_and_b64 s[22:23], s[16:17], s[22:23]
	v_cndmask_b32_e64 v76, v46, v88, s[14:15]
	v_lshrrev_b64 v[46:47], v75, v[54:55]
	v_lshrrev_b32_e32 v55, 23, v36
	v_cndmask_b32_e64 v63, v63, v89, s[14:15]
	v_lshlrev_b64 v[52:53], v50, -1
	v_not_b32_e32 v50, v48
	v_lshlrev_b64 v[66:67], v49, 1
	v_lshrrev_b64 v[48:49], v77, v[44:45]
	s_or_b64 vcc, s[6:7], s[4:5]
	v_cndmask_b32_e64 v45, v70, 0, s[8:9]
	v_lshlrev_b64 v[70:71], v58, -1
	v_lshlrev_b64 v[64:65], v64, 1
	v_bfe_u32 v69, v36, 20, 1
	v_add_u32_e32 v53, 19, v77
	v_lshrrev_b32_e32 v78, 23, v46
	v_add3_u32 v55, v73, v74, v55
	v_bfe_u32 v73, v46, 20, 1
	v_cndmask_b32_e32 v38, v38, v40, vcc
	s_and_b64 s[4:5], s[22:23], s[26:27]
	v_add_u32_e32 v40, 20, v63
	v_not_b32_e32 v71, v52
	v_and_b32_e32 v58, v68, v50
	v_add_u32_e32 v74, -1, v69
	v_lshlrev_b64 v[68:69], v53, 1
	v_lshrrev_b64 v[52:53], v63, v[34:35]
	v_add3_u32 v75, v75, v72, v78
	v_add_u32_e32 v97, -1, v73
	v_cndmask_b32_e64 v35, v38, 0, s[4:5]
	v_lshlrev_b64 v[72:73], v40, -1
	v_and_b32_e32 v50, v54, v71
	v_cmp_eq_u64_e64 s[4:5], v[58:59], v[64:65]
	v_add_u32_e32 v79, 19, v63
	v_not_b32_e32 v38, v70
	v_cndmask_b32_e64 v58, 0, v74, s[4:5]
	v_not_b32_e32 v59, v72
	v_cmp_eq_u64_e64 s[6:7], v[50:51], v[66:67]
	v_lshrrev_b32_e32 v80, 23, v48
	v_add_u32_e32 v78, 6, v55
	v_bfe_u32 v81, v48, 20, 1
	v_add_u32_e32 v98, 7, v55
	v_lshlrev_b64 v[54:55], v79, 1
	v_bfe_u32 v73, v52, 20, 1
	v_and_b32_e32 v40, v44, v38
	v_cndmask_b32_e64 v50, 0, v97, s[6:7]
	v_add_u32_e32 v51, v58, v36
	v_and_b32_e32 v38, v34, v59
	v_add3_u32 v61, v77, v61, v80
	v_add_u32_e32 v77, -1, v81
	v_add_u32_e32 v64, -1, v73
	v_cmp_eq_u64_e64 s[6:7], v[40:41], v[68:69]
	v_add_u32_e32 v41, v50, v46
	v_and_b32_e32 v50, 0xfffff, v51
	v_cmp_eq_u64_e64 s[10:11], v[38:39], v[54:55]
	v_cndmask_b32_e64 v40, 0, v77, s[6:7]
	v_cndmask_b32_e64 v38, 0, v64, s[10:11]
	v_add_co_u32_e64 v36, s[10:11], v50, v36
	v_cmp_ne_u32_e32 vcc, 0, v78
	v_add_u32_e32 v39, v40, v48
	v_and_b32_e32 v40, 0xfffff, v41
	v_addc_co_u32_e64 v37, s[10:11], 0, v37, s[10:11]
	v_cmp_lt_u64_e64 s[10:11], s[66:67], v[36:37]
	s_and_b64 vcc, s[78:79], vcc
	v_add_u32_e32 v41, v38, v52
	v_and_b32_e32 v54, 0xfffff, v39
	v_add_co_u32_e64 v38, s[12:13], v40, v46
	v_lshrrev_b32_e32 v70, 23, v52
	v_add_u32_e32 v71, 6, v75
	v_cndmask_b32_e64 v51, v78, v98, s[10:11]
	v_addc_co_u32_e64 v39, s[12:13], 0, v47, s[12:13]
	v_and_b32_e32 v46, 0xfffff, v41
	v_add_co_u32_e64 v40, s[14:15], v54, v48
	s_and_b64 s[10:11], vcc, s[10:11]
	v_add_u32_e32 v75, 7, v75
	v_add3_u32 v44, v63, v76, v70
	v_add_u32_e32 v63, 6, v61
	v_cmp_ne_u32_e64 s[4:5], 0, v71
	v_bfe_u32 v50, v36, 23, 1
	v_cmp_lt_u64_e64 s[12:13], s[66:67], v[38:39]
	v_addc_co_u32_e64 v41, s[14:15], 0, v49, s[14:15]
	v_cndmask_b32_e64 v49, 0, 1, s[10:11]
	v_add_co_u32_e64 v46, s[10:11], v46, v52
	s_and_b64 s[20:21], s[36:37], s[28:29]
	v_add_u32_e32 v61, 7, v61
	v_add_u32_e32 v34, 6, v44
	v_cmp_ne_u32_e64 s[8:9], 0, v63
	v_bfe_u32 v55, v38, 23, 1
	v_cndmask_b32_e64 v58, v71, v75, s[12:13]
	s_and_b64 s[4:5], s[24:25], s[4:5]
	v_cndmask_b32_e32 v48, v50, v51, vcc
	v_cmp_lt_u64_e32 vcc, s[66:67], v[40:41]
	v_addc_co_u32_e64 v47, s[10:11], 0, v53, s[10:11]
	s_and_b64 s[16:17], s[22:23], s[38:39]
	v_add_u32_e32 v44, 7, v44
	v_cmp_ne_u32_e64 s[6:7], 0, v34
	v_bfe_u32 v50, v40, 23, 1
	v_cndmask_b32_e32 v51, v63, v61, vcc
	s_and_b64 s[8:9], s[20:21], s[8:9]
	v_cndmask_b32_e64 v52, v55, v58, s[4:5]
	s_and_b64 s[4:5], s[4:5], s[12:13]
	v_cmp_lt_u64_e64 s[12:13], s[66:67], v[46:47]
	v_cndmask_b32_e64 v53, 0, 1, s[4:5]
	v_lshrrev_b64 v[36:37], v49, v[36:37]
	v_bfe_u32 v54, v46, 23, 1
	v_cndmask_b32_e64 v34, v34, v44, s[12:13]
	v_cndmask_b32_e64 v44, v50, v51, s[8:9]
	s_and_b64 s[8:9], s[8:9], vcc
	s_and_b64 s[6:7], s[16:17], s[6:7]
	v_cmp_eq_u32_e64 s[4:5], 0, v48
	v_min_i32_e32 v49, 15, v48
	v_lshrrev_b64 v[36:37], 20, v[36:37]
	v_cmp_gt_i32_e64 s[10:11], 16, v48
	v_cndmask_b32_e64 v48, 0, 1, s[8:9]
	v_lshrrev_b64 v[38:39], v53, v[38:39]
	v_cndmask_b32_e64 v34, v54, v34, s[6:7]
	s_and_b64 s[6:7], s[6:7], s[12:13]
	v_cndmask_b32_e64 v51, 0, 1, s[6:7]
	v_lshrrev_b64 v[40:41], v48, v[40:41]
	v_lshrrev_b64 v[38:39], 20, v[38:39]
	v_cndmask_b32_e64 v37, 0, v37, s[10:11]
	v_cndmask_b32_e64 v36, 7, v36, s[10:11]
	v_cmp_gt_i32_e64 s[8:9], 16, v52
	v_lshl_or_b32 v49, v49, 3, v3
	v_lshrrev_b64 v[46:47], v51, v[46:47]
	v_lshrrev_b64 v[40:41], 20, v[40:41]
	v_cndmask_b32_e64 v39, 0, v39, s[8:9]
	v_cndmask_b32_e64 v38, 7, v38, s[8:9]
	v_cmp_eq_u64_e64 s[10:11], 0, v[36:37]
	v_cmp_gt_i32_e64 s[12:13], 16, v44
	v_cmp_eq_u32_e32 vcc, 0, v52
	v_and_or_b32 v49, v36, 7, v49
	v_lshrrev_b64 v[36:37], 20, v[46:47]
	v_cndmask_b32_e64 v41, 0, v41, s[12:13]
	v_cndmask_b32_e64 v40, 7, v40, s[12:13]
	v_cmp_eq_u64_e64 s[12:13], 0, v[38:39]
	s_and_b64 s[10:11], s[4:5], s[10:11]
	v_cmp_gt_i32_e64 s[4:5], 16, v34
	v_cmp_eq_u32_e64 s[6:7], 0, v44
	v_cndmask_b32_e64 v37, 0, v37, s[4:5]
	v_cndmask_b32_e64 v36, 7, v36, s[4:5]
	v_cmp_eq_u64_e64 s[4:5], 0, v[40:41]
	s_and_b64 s[12:13], vcc, s[12:13]
	s_xor_b64 s[14:15], s[10:11], -1
	s_and_b64 vcc, s[78:79], s[10:11]
	s_and_b64 s[6:7], s[6:7], s[4:5]
	s_and_b64 s[4:5], s[24:25], s[12:13]
	v_min_i32_e32 v50, 15, v52
	v_cmp_eq_u32_e64 s[8:9], 0, v34
	v_cndmask_b32_e32 v3, v60, v3, vcc
	v_cmp_eq_u64_e32 vcc, 0, v[36:37]
	v_cndmask_b32_e64 v10, v10, v56, s[4:5]
	s_and_b64 s[4:5], s[78:79], s[14:15]
	v_lshl_or_b32 v50, v50, 3, v56
	s_xor_b64 s[10:11], s[12:13], -1
	v_cndmask_b32_e64 v3, v3, v49, s[4:5]
	s_and_b64 s[4:5], s[8:9], vcc
	s_and_b64 vcc, s[20:21], s[6:7]
	v_min_i32_e32 v48, 15, v44
	v_and_or_b32 v38, v38, 7, v50
	v_cndmask_b32_e32 v37, v45, v57, vcc
	s_and_b64 vcc, s[24:25], s[10:11]
	v_lshl_or_b32 v48, v48, 3, v57
	s_xor_b64 s[8:9], s[6:7], -1
	v_cndmask_b32_e32 v10, v10, v38, vcc
	s_and_b64 vcc, s[16:17], s[4:5]
	v_min_i32_e32 v51, 15, v34
	v_and_or_b32 v34, v40, 7, v48
	v_lshlrev_b16_e32 v3, 8, v3
	v_cndmask_b32_e32 v35, v35, v62, vcc
	s_and_b64 vcc, s[20:21], s[8:9]
	v_lshl_or_b32 v39, v51, 3, v62
	s_xor_b64 s[6:7], s[4:5], -1
	v_or_b32_sdwa v3, v10, v3 dst_sel:DWORD dst_unused:UNUSED_PAD src0_sel:BYTE_0 src1_sel:DWORD
	v_cndmask_b32_e32 v10, v37, v34, vcc
	v_and_or_b32 v36, v36, 7, v39
	v_lshlrev_b16_e32 v10, 8, v10
	s_and_b64 vcc, s[16:17], s[6:7]
	v_cndmask_b32_e32 v34, v35, v36, vcc
	s_or_b64 s[76:77], s[2:3], s[76:77]
	v_lshrrev_b32_e32 v10, 8, v10
	v_lshrrev_b32_e32 v35, 8, v3
	global_store_byte v[42:43], v34, off
	global_store_byte v[28:29], v10, off
	;; [unrolled: 1-line block ×4, first 2 shown]
	s_andn2_b64 exec, exec, s[76:77]
	s_cbranch_execnz .LBB19_470
; %bb.471:                              ;   in Loop: Header=BB19_9 Depth=1
	s_or_b64 exec, exec, s[76:77]
	v_cmp_ne_u32_e32 vcc, v90, v92
	v_lshl_add_u32 v2, v92, 5, v2
	s_orn2_b64 s[2:3], vcc, exec
	s_mov_b32 s92, s91
	s_mov_b32 s93, s94
	v_readlane_b32 s34, v99, 1
	v_readlane_b32 s35, v99, 2
	s_mul_i32 s20, s57, s84
	s_movk_i32 s21, 0x5f
.LBB19_472:                             ;   in Loop: Header=BB19_9 Depth=1
	s_or_b64 exec, exec, s[74:75]
	s_and_b64 exec, exec, s[2:3]
	s_cbranch_execz .LBB19_491
; %bb.473:                              ;   in Loop: Header=BB19_9 Depth=1
	v_ashrrev_i32_e32 v3, 31, v2
	v_lshlrev_b64 v[4:5], 1, v[2:3]
	v_add_co_u32_e32 v4, vcc, v26, v4
	v_addc_co_u32_e32 v5, vcc, v27, v5, vcc
	v_add_co_u32_e32 v4, vcc, v4, v22
	v_readlane_b32 s2, v99, 25
	v_addc_co_u32_e32 v5, vcc, v5, v23, vcc
	v_mov_b32_e32 v6, s2
	v_readlane_b32 s2, v99, 26
	v_add_co_u32_e32 v4, vcc, s2, v4
	v_addc_co_u32_e32 v5, vcc, v6, v5, vcc
	v_add_co_u32_e32 v6, vcc, v24, v2
	v_addc_co_u32_e32 v3, vcc, v25, v3, vcc
	;; [unrolled: 2-line block ×3, first 2 shown]
	s_mov_b64 s[4:5], 0
	s_branch .LBB19_475
.LBB19_474:                             ;   in Loop: Header=BB19_475 Depth=2
	s_or_b64 exec, exec, s[2:3]
	v_add_co_u32_e32 v4, vcc, 64, v4
	v_add_u32_e32 v2, 32, v2
	v_addc_co_u32_e32 v5, vcc, 0, v5, vcc
	v_cmp_ge_i32_e32 vcc, v2, v15
	global_store_byte v[6:7], v23, off
	s_or_b64 s[4:5], vcc, s[4:5]
	v_add_co_u32_e32 v6, vcc, 32, v6
	v_addc_co_u32_e32 v7, vcc, 0, v7, vcc
	s_andn2_b64 exec, exec, s[4:5]
	s_cbranch_execz .LBB19_491
.LBB19_475:                             ;   Parent Loop BB19_9 Depth=1
                                        ; =>  This Inner Loop Header: Depth=2
	global_load_ushort v3, v[4:5], off
	v_mov_b32_e32 v25, v11
	s_waitcnt vmcnt(0)
	v_lshlrev_b32_e32 v3, 16, v3
	v_div_scale_f32 v10, s[2:3], s33, s33, v3
	v_rcp_f32_e32 v22, v10
	v_div_scale_f32 v23, vcc, v3, s33, v3
	v_fma_f32 v24, -v10, v22, 1.0
	v_fmac_f32_e32 v22, v24, v22
	v_mul_f32_e32 v24, v23, v22
	v_fma_f32 v26, -v10, v24, v23
	v_fmac_f32_e32 v24, v26, v22
	v_fma_f32 v10, -v10, v24, v23
	v_div_fmas_f32 v10, v10, v22, v24
	v_div_fixup_f32 v22, v10, s33, v3
	v_and_b32_sdwa v3, v22, s58 dst_sel:DWORD dst_unused:UNUSED_PAD src0_sel:BYTE_3 src1_sel:DWORD
	v_and_b32_e32 v24, 0x7f800000, v22
	v_and_b32_e32 v10, 0x7fffff, v22
	v_or_b32_e32 v23, 0x7e, v3
	v_cmp_ne_u64_e32 vcc, s[62:63], v[24:25]
	s_and_saveexec_b64 s[2:3], vcc
	s_xor_b64 s[6:7], exec, s[2:3]
	s_cbranch_execz .LBB19_489
; %bb.476:                              ;   in Loop: Header=BB19_475 Depth=2
	v_and_b32_e32 v24, 0x7fffffff, v22
	v_mov_b32_e32 v25, v11
	v_cmp_gt_u64_e32 vcc, s[64:65], v[24:25]
	s_and_saveexec_b64 s[2:3], vcc
	s_xor_b64 s[8:9], exec, s[2:3]
	s_cbranch_execz .LBB19_488
; %bb.477:                              ;   in Loop: Header=BB19_475 Depth=2
	v_cmp_ne_u32_e32 vcc, 0, v22
	v_mov_b32_e32 v23, 0
	s_and_saveexec_b64 s[10:11], vcc
	s_cbranch_execz .LBB19_487
; %bb.478:                              ;   in Loop: Header=BB19_475 Depth=2
	v_bfe_u32 v22, v22, 23, 8
	v_sub_u32_e32 v24, 0x79, v22
	v_cmp_gt_u32_e32 vcc, s59, v22
	v_cndmask_b32_e32 v24, 0, v24, vcc
	v_cmp_eq_u32_e32 vcc, 0, v22
	v_cndmask_b32_e32 v24, v24, v89, vcc
	v_add_u32_e32 v23, 0xffffff81, v22
	v_or_b32_e32 v25, 0x800000, v10
	v_add_u32_e32 v22, 20, v24
	v_cndmask_b32_e32 v30, v23, v88, vcc
	v_cndmask_b32_e32 v10, v25, v10, vcc
	v_lshlrev_b64 v[22:23], v22, -1
	v_not_b32_e32 v22, v22
	v_lshrrev_b64 v[28:29], v24, v[10:11]
	v_not_b32_e32 v23, v23
	v_and_b32_e32 v22, v10, v22
	v_add_u32_e32 v25, 19, v24
	v_lshrrev_b32_e32 v10, 23, v28
	v_and_b32_e32 v23, 0, v23
	v_lshlrev_b64 v[26:27], v25, 1
	v_add3_u32 v25, v24, v30, v10
	v_bfe_u32 v10, v28, 20, 1
	v_add_u32_e32 v10, -1, v10
	v_cmp_eq_u64_e32 vcc, v[22:23], v[26:27]
	v_cndmask_b32_e32 v10, 0, v10, vcc
	v_add_u32_e32 v10, v10, v28
	v_and_b32_e32 v10, 0xfffff, v10
	v_add_co_u32_e32 v22, vcc, v10, v28
	v_add_u32_e32 v24, 6, v25
	v_addc_co_u32_e32 v23, vcc, 0, v29, vcc
	v_cmp_ne_u32_e32 vcc, 0, v24
                                        ; implicit-def: $vgpr10
	s_and_saveexec_b64 s[2:3], vcc
	s_xor_b64 s[2:3], exec, s[2:3]
; %bb.479:                              ;   in Loop: Header=BB19_475 Depth=2
	v_add_u32_e32 v10, 7, v25
	v_cmp_lt_u64_e32 vcc, s[66:67], v[22:23]
	v_cndmask_b32_e32 v10, v24, v10, vcc
	v_cndmask_b32_e64 v24, 0, 1, vcc
	v_lshrrev_b64 v[22:23], v24, v[22:23]
; %bb.480:                              ;   in Loop: Header=BB19_475 Depth=2
	s_andn2_saveexec_b64 s[2:3], s[2:3]
; %bb.481:                              ;   in Loop: Header=BB19_475 Depth=2
	v_bfe_u32 v10, v22, 23, 1
; %bb.482:                              ;   in Loop: Header=BB19_475 Depth=2
	s_or_b64 exec, exec, s[2:3]
	v_lshrrev_b64 v[22:23], 20, v[22:23]
	v_cmp_gt_i32_e32 vcc, 16, v10
	v_cndmask_b32_e32 v23, 0, v23, vcc
	v_cndmask_b32_e32 v22, 7, v22, vcc
	v_cmp_ne_u32_e32 vcc, 0, v10
	v_cmp_ne_u64_e64 s[2:3], 0, v[22:23]
	s_or_b64 s[2:3], vcc, s[2:3]
                                        ; implicit-def: $vgpr23
	s_and_saveexec_b64 s[12:13], s[2:3]
	s_xor_b64 s[2:3], exec, s[12:13]
; %bb.483:                              ;   in Loop: Header=BB19_475 Depth=2
	v_min_i32_e32 v10, 15, v10
	v_lshl_or_b32 v3, v10, 3, v3
	v_and_or_b32 v23, v22, 7, v3
                                        ; implicit-def: $vgpr3
; %bb.484:                              ;   in Loop: Header=BB19_475 Depth=2
	s_andn2_saveexec_b64 s[2:3], s[2:3]
; %bb.485:                              ;   in Loop: Header=BB19_475 Depth=2
	v_mov_b32_e32 v23, v3
; %bb.486:                              ;   in Loop: Header=BB19_475 Depth=2
	s_or_b64 exec, exec, s[2:3]
.LBB19_487:                             ;   in Loop: Header=BB19_475 Depth=2
	s_or_b64 exec, exec, s[10:11]
.LBB19_488:                             ;   in Loop: Header=BB19_475 Depth=2
	s_andn2_saveexec_b64 s[2:3], s[8:9]
	s_or_b64 exec, exec, s[2:3]
                                        ; implicit-def: $vgpr22
.LBB19_489:                             ;   in Loop: Header=BB19_475 Depth=2
	s_andn2_saveexec_b64 s[2:3], s[6:7]
	s_cbranch_execz .LBB19_474
; %bb.490:                              ;   in Loop: Header=BB19_475 Depth=2
	v_or_b32_sdwa v3, v22, s40 dst_sel:DWORD dst_unused:UNUSED_PAD src0_sel:BYTE_3 src1_sel:DWORD
	v_cmp_eq_u64_e32 vcc, 0, v[10:11]
	v_cndmask_b32_e32 v23, v3, v23, vcc
	s_branch .LBB19_474
.LBB19_491:                             ;   in Loop: Header=BB19_9 Depth=1
	s_or_b64 exec, exec, s[72:73]
                                        ; implicit-def: $vgpr22_vgpr23
.LBB19_492:                             ;   in Loop: Header=BB19_9 Depth=1
	s_andn2_saveexec_b64 s[4:5], s[70:71]
	s_cbranch_execz .LBB19_8
; %bb.493:                              ;   in Loop: Header=BB19_9 Depth=1
	s_and_saveexec_b64 s[6:7], s[0:1]
	s_cbranch_execz .LBB19_7
; %bb.494:                              ;   in Loop: Header=BB19_9 Depth=1
	v_add_co_u32_e32 v6, vcc, v85, v22
	v_addc_co_u32_e32 v7, vcc, v86, v23, vcc
	s_mov_b64 s[8:9], 0
	v_pk_mov_b32 v[22:23], v[18:19], v[18:19] op_sel:[0,1]
	v_mov_b32_e32 v15, v8
	s_branch .LBB19_496
.LBB19_495:                             ;   in Loop: Header=BB19_496 Depth=2
	s_or_b64 exec, exec, s[2:3]
	v_lshlrev_b32_e32 v4, 16, v34
	v_lshlrev_b32_e32 v3, 24, v36
	v_and_b32_e32 v4, 0xff0000, v4
	v_or_b32_e32 v3, v3, v4
	v_lshlrev_b32_e32 v4, 8, v32
	v_and_b32_e32 v4, 0xff00, v4
	v_and_b32_e32 v5, 0xff, v30
	v_or3_b32 v3, v3, v4, v5
	v_lshlrev_b32_e32 v4, 16, v28
	v_lshlrev_b32_e32 v5, 8, v26
	v_perm_b32 v2, v2, v4, s42
	v_and_or_b32 v2, v5, s41, v2
	v_or_b32_sdwa v2, v2, v24 dst_sel:DWORD dst_unused:UNUSED_PAD src0_sel:DWORD src1_sel:BYTE_0
	global_store_dwordx2 v[22:23], v[2:3], off
	v_add_co_u32_e32 v22, vcc, 0x100, v22
	v_add_u32_e32 v15, 32, v15
	v_addc_co_u32_e32 v23, vcc, 0, v23, vcc
	v_add_co_u32_e32 v6, vcc, 0x200, v6
	v_cmp_le_i32_e64 s[2:3], s85, v15
	s_or_b64 s[8:9], s[2:3], s[8:9]
	v_addc_co_u32_e32 v7, vcc, 0, v7, vcc
	s_andn2_b64 exec, exec, s[8:9]
	s_cbranch_execz .LBB19_7
.LBB19_496:                             ;   Parent Loop BB19_9 Depth=1
                                        ; =>  This Inner Loop Header: Depth=2
	global_load_dwordx4 v[2:5], v[6:7], off
	v_mov_b32_e32 v29, v11
	s_waitcnt vmcnt(0)
	v_lshlrev_b32_e32 v10, 16, v2
	v_div_scale_f32 v24, s[2:3], s33, s33, v10
	v_rcp_f32_e32 v25, v24
	v_div_scale_f32 v26, vcc, v10, s33, v10
	v_fma_f32 v27, -v24, v25, 1.0
	v_fmac_f32_e32 v25, v27, v25
	v_mul_f32_e32 v27, v26, v25
	v_fma_f32 v28, -v24, v27, v26
	v_fmac_f32_e32 v27, v28, v25
	v_fma_f32 v24, -v24, v27, v26
	v_div_fmas_f32 v24, v24, v25, v27
	v_div_fixup_f32 v27, v24, s33, v10
	v_and_b32_sdwa v26, v27, s58 dst_sel:DWORD dst_unused:UNUSED_PAD src0_sel:BYTE_3 src1_sel:DWORD
	v_and_b32_e32 v28, 0x7f800000, v27
	v_and_b32_e32 v10, 0x7fffff, v27
	v_or_b32_e32 v24, 0x7e, v26
	v_cmp_ne_u64_e32 vcc, s[62:63], v[28:29]
	s_and_saveexec_b64 s[2:3], vcc
	s_xor_b64 s[10:11], exec, s[2:3]
	s_cbranch_execz .LBB19_510
; %bb.497:                              ;   in Loop: Header=BB19_496 Depth=2
	v_and_b32_e32 v28, 0x7fffffff, v27
	v_mov_b32_e32 v29, v11
	v_cmp_gt_u64_e32 vcc, s[64:65], v[28:29]
	s_and_saveexec_b64 s[2:3], vcc
	s_xor_b64 s[12:13], exec, s[2:3]
	s_cbranch_execz .LBB19_509
; %bb.498:                              ;   in Loop: Header=BB19_496 Depth=2
	v_cmp_ne_u32_e32 vcc, 0, v27
	v_pk_mov_b32 v[24:25], 0, 0
	s_and_saveexec_b64 s[14:15], vcc
	s_cbranch_execz .LBB19_508
; %bb.499:                              ;   in Loop: Header=BB19_496 Depth=2
	v_bfe_u32 v24, v27, 23, 8
	v_sub_u32_e32 v27, 0x79, v24
	v_cmp_gt_u32_e32 vcc, s59, v24
	v_cndmask_b32_e32 v27, 0, v27, vcc
	v_cmp_eq_u32_e32 vcc, 0, v24
	v_cndmask_b32_e32 v27, v27, v89, vcc
	v_add_u32_e32 v25, 0xffffff81, v24
	v_or_b32_e32 v28, 0x800000, v10
	v_add_u32_e32 v24, 20, v27
	v_cndmask_b32_e32 v29, v25, v88, vcc
	v_cndmask_b32_e32 v10, v28, v10, vcc
	v_lshlrev_b64 v[24:25], v24, -1
	v_not_b32_e32 v24, v24
	v_lshrrev_b64 v[32:33], v27, v[10:11]
	v_not_b32_e32 v25, v25
	v_and_b32_e32 v24, v10, v24
	v_add_u32_e32 v28, 19, v27
	v_lshrrev_b32_e32 v10, 23, v32
	v_and_b32_e32 v25, 0, v25
	v_lshlrev_b64 v[30:31], v28, 1
	v_add3_u32 v28, v27, v29, v10
	v_bfe_u32 v10, v32, 20, 1
	v_add_u32_e32 v10, -1, v10
	v_cmp_eq_u64_e32 vcc, v[24:25], v[30:31]
	v_cndmask_b32_e32 v10, 0, v10, vcc
	v_add_u32_e32 v10, v10, v32
	v_and_b32_e32 v10, 0xfffff, v10
	v_add_co_u32_e32 v24, vcc, v10, v32
	v_add_u32_e32 v27, 6, v28
	v_addc_co_u32_e32 v25, vcc, 0, v33, vcc
	v_cmp_ne_u32_e32 vcc, 0, v27
                                        ; implicit-def: $vgpr10
	s_and_saveexec_b64 s[2:3], vcc
	s_xor_b64 s[2:3], exec, s[2:3]
; %bb.500:                              ;   in Loop: Header=BB19_496 Depth=2
	v_add_u32_e32 v10, 7, v28
	v_cmp_lt_u64_e32 vcc, s[66:67], v[24:25]
	v_cndmask_b32_e32 v10, v27, v10, vcc
	v_cndmask_b32_e64 v27, 0, 1, vcc
	v_lshrrev_b64 v[24:25], v27, v[24:25]
; %bb.501:                              ;   in Loop: Header=BB19_496 Depth=2
	s_andn2_saveexec_b64 s[2:3], s[2:3]
; %bb.502:                              ;   in Loop: Header=BB19_496 Depth=2
	v_bfe_u32 v10, v24, 23, 1
; %bb.503:                              ;   in Loop: Header=BB19_496 Depth=2
	s_or_b64 exec, exec, s[2:3]
	v_lshrrev_b64 v[24:25], 20, v[24:25]
	v_cmp_gt_i32_e32 vcc, 16, v10
	v_cndmask_b32_e32 v29, 0, v25, vcc
	v_cndmask_b32_e32 v28, 7, v24, vcc
	v_cmp_ne_u32_e32 vcc, 0, v10
	v_cmp_ne_u64_e64 s[2:3], 0, v[28:29]
	s_or_b64 s[2:3], vcc, s[2:3]
                                        ; implicit-def: $vgpr24_vgpr25
	s_and_saveexec_b64 s[16:17], s[2:3]
	s_xor_b64 s[2:3], exec, s[16:17]
; %bb.504:                              ;   in Loop: Header=BB19_496 Depth=2
	v_min_i32_e32 v10, 15, v10
	v_lshl_or_b32 v10, v10, 3, v26
	v_and_or_b32 v24, v28, 7, v10
                                        ; implicit-def: $vgpr26
; %bb.505:                              ;   in Loop: Header=BB19_496 Depth=2
	s_andn2_saveexec_b64 s[2:3], s[2:3]
; %bb.506:                              ;   in Loop: Header=BB19_496 Depth=2
	v_pk_mov_b32 v[24:25], v[26:27], v[26:27] op_sel:[0,1]
; %bb.507:                              ;   in Loop: Header=BB19_496 Depth=2
	s_or_b64 exec, exec, s[2:3]
.LBB19_508:                             ;   in Loop: Header=BB19_496 Depth=2
	s_or_b64 exec, exec, s[14:15]
.LBB19_509:                             ;   in Loop: Header=BB19_496 Depth=2
	s_andn2_saveexec_b64 s[2:3], s[12:13]
	s_or_b64 exec, exec, s[2:3]
                                        ; implicit-def: $vgpr27
.LBB19_510:                             ;   in Loop: Header=BB19_496 Depth=2
	s_andn2_saveexec_b64 s[2:3], s[10:11]
; %bb.511:                              ;   in Loop: Header=BB19_496 Depth=2
	v_or_b32_sdwa v25, v27, s40 dst_sel:DWORD dst_unused:UNUSED_PAD src0_sel:BYTE_3 src1_sel:DWORD
	v_cmp_eq_u64_e32 vcc, 0, v[10:11]
	v_cndmask_b32_e32 v24, v25, v24, vcc
; %bb.512:                              ;   in Loop: Header=BB19_496 Depth=2
	s_or_b64 exec, exec, s[2:3]
	v_and_b32_e32 v2, 0xffff0000, v2
	v_div_scale_f32 v10, s[2:3], s33, s33, v2
	v_rcp_f32_e32 v25, v10
	v_div_scale_f32 v26, vcc, v2, s33, v2
	v_mov_b32_e32 v29, v11
	v_fma_f32 v27, -v10, v25, 1.0
	v_fmac_f32_e32 v25, v27, v25
	v_mul_f32_e32 v27, v26, v25
	v_fma_f32 v28, -v10, v27, v26
	v_fmac_f32_e32 v27, v28, v25
	v_fma_f32 v10, -v10, v27, v26
	v_div_fmas_f32 v10, v10, v25, v27
	v_div_fixup_f32 v25, v10, s33, v2
	v_and_b32_sdwa v2, v25, s58 dst_sel:DWORD dst_unused:UNUSED_PAD src0_sel:BYTE_3 src1_sel:DWORD
	v_and_b32_e32 v28, 0x7f800000, v25
	v_and_b32_e32 v10, 0x7fffff, v25
	v_or_b32_e32 v26, 0x7e, v2
	v_cmp_ne_u64_e32 vcc, s[62:63], v[28:29]
	s_and_saveexec_b64 s[2:3], vcc
	s_xor_b64 s[10:11], exec, s[2:3]
	s_cbranch_execz .LBB19_526
; %bb.513:                              ;   in Loop: Header=BB19_496 Depth=2
	v_and_b32_e32 v28, 0x7fffffff, v25
	v_mov_b32_e32 v29, v11
	v_cmp_gt_u64_e32 vcc, s[64:65], v[28:29]
	s_and_saveexec_b64 s[2:3], vcc
	s_xor_b64 s[12:13], exec, s[2:3]
	s_cbranch_execz .LBB19_525
; %bb.514:                              ;   in Loop: Header=BB19_496 Depth=2
	v_cmp_ne_u32_e32 vcc, 0, v25
	v_pk_mov_b32 v[26:27], 0, 0
	s_and_saveexec_b64 s[14:15], vcc
	s_cbranch_execz .LBB19_524
; %bb.515:                              ;   in Loop: Header=BB19_496 Depth=2
	v_bfe_u32 v25, v25, 23, 8
	v_sub_u32_e32 v27, 0x79, v25
	v_cmp_gt_u32_e32 vcc, s59, v25
	v_cndmask_b32_e32 v27, 0, v27, vcc
	v_cmp_eq_u32_e32 vcc, 0, v25
	v_add_u32_e32 v26, 0xffffff81, v25
	v_cndmask_b32_e32 v29, v27, v89, vcc
	v_or_b32_e32 v28, 0x800000, v10
	v_cndmask_b32_e32 v25, v26, v88, vcc
	v_add_u32_e32 v26, 20, v29
	v_cndmask_b32_e32 v10, v28, v10, vcc
	v_lshlrev_b64 v[26:27], v26, -1
	v_not_b32_e32 v26, v26
	v_lshrrev_b64 v[32:33], v29, v[10:11]
	v_not_b32_e32 v27, v27
	v_and_b32_e32 v26, v10, v26
	v_add_u32_e32 v28, 19, v29
	v_lshrrev_b32_e32 v10, 23, v32
	v_and_b32_e32 v27, 0, v27
	v_lshlrev_b64 v[30:31], v28, 1
	v_add3_u32 v28, v29, v25, v10
	v_bfe_u32 v10, v32, 20, 1
	v_add_u32_e32 v10, -1, v10
	v_cmp_eq_u64_e32 vcc, v[26:27], v[30:31]
	v_cndmask_b32_e32 v10, 0, v10, vcc
	v_add_u32_e32 v10, v10, v32
	v_and_b32_e32 v10, 0xfffff, v10
	v_add_co_u32_e32 v26, vcc, v10, v32
	v_add_u32_e32 v25, 6, v28
	v_addc_co_u32_e32 v27, vcc, 0, v33, vcc
	v_cmp_ne_u32_e32 vcc, 0, v25
                                        ; implicit-def: $vgpr10
	s_and_saveexec_b64 s[2:3], vcc
	s_xor_b64 s[2:3], exec, s[2:3]
; %bb.516:                              ;   in Loop: Header=BB19_496 Depth=2
	v_add_u32_e32 v10, 7, v28
	v_cmp_lt_u64_e32 vcc, s[66:67], v[26:27]
	v_cndmask_b32_e32 v10, v25, v10, vcc
	v_cndmask_b32_e64 v25, 0, 1, vcc
	v_lshrrev_b64 v[26:27], v25, v[26:27]
; %bb.517:                              ;   in Loop: Header=BB19_496 Depth=2
	s_andn2_saveexec_b64 s[2:3], s[2:3]
; %bb.518:                              ;   in Loop: Header=BB19_496 Depth=2
	v_bfe_u32 v10, v26, 23, 1
; %bb.519:                              ;   in Loop: Header=BB19_496 Depth=2
	s_or_b64 exec, exec, s[2:3]
	v_lshrrev_b64 v[26:27], 20, v[26:27]
	v_cmp_gt_i32_e32 vcc, 16, v10
	v_cndmask_b32_e32 v29, 0, v27, vcc
	v_cndmask_b32_e32 v28, 7, v26, vcc
	v_cmp_ne_u32_e32 vcc, 0, v10
	v_cmp_ne_u64_e64 s[2:3], 0, v[28:29]
	s_or_b64 s[2:3], vcc, s[2:3]
                                        ; implicit-def: $vgpr26_vgpr27
	s_and_saveexec_b64 s[16:17], s[2:3]
	s_xor_b64 s[2:3], exec, s[16:17]
; %bb.520:                              ;   in Loop: Header=BB19_496 Depth=2
	v_min_i32_e32 v10, 15, v10
	v_lshl_or_b32 v2, v10, 3, v2
	v_and_or_b32 v26, v28, 7, v2
                                        ; implicit-def: $vgpr2
; %bb.521:                              ;   in Loop: Header=BB19_496 Depth=2
	s_andn2_saveexec_b64 s[2:3], s[2:3]
; %bb.522:                              ;   in Loop: Header=BB19_496 Depth=2
	v_pk_mov_b32 v[26:27], v[2:3], v[2:3] op_sel:[0,1]
; %bb.523:                              ;   in Loop: Header=BB19_496 Depth=2
	s_or_b64 exec, exec, s[2:3]
.LBB19_524:                             ;   in Loop: Header=BB19_496 Depth=2
	s_or_b64 exec, exec, s[14:15]
.LBB19_525:                             ;   in Loop: Header=BB19_496 Depth=2
	s_andn2_saveexec_b64 s[2:3], s[12:13]
	s_or_b64 exec, exec, s[2:3]
                                        ; implicit-def: $vgpr25
.LBB19_526:                             ;   in Loop: Header=BB19_496 Depth=2
	s_andn2_saveexec_b64 s[2:3], s[10:11]
; %bb.527:                              ;   in Loop: Header=BB19_496 Depth=2
	v_or_b32_sdwa v2, v25, s40 dst_sel:DWORD dst_unused:UNUSED_PAD src0_sel:BYTE_3 src1_sel:DWORD
	v_cmp_eq_u64_e32 vcc, 0, v[10:11]
	v_cndmask_b32_e32 v26, v2, v26, vcc
; %bb.528:                              ;   in Loop: Header=BB19_496 Depth=2
	s_or_b64 exec, exec, s[2:3]
	v_lshlrev_b32_e32 v2, 16, v3
	v_div_scale_f32 v10, s[2:3], s33, s33, v2
	v_rcp_f32_e32 v25, v10
	v_div_scale_f32 v27, vcc, v2, s33, v2
	v_mov_b32_e32 v31, v11
	v_fma_f32 v28, -v10, v25, 1.0
	v_fmac_f32_e32 v25, v28, v25
	v_mul_f32_e32 v28, v27, v25
	v_fma_f32 v29, -v10, v28, v27
	v_fmac_f32_e32 v28, v29, v25
	v_fma_f32 v10, -v10, v28, v27
	v_div_fmas_f32 v10, v10, v25, v28
	v_div_fixup_f32 v25, v10, s33, v2
	v_and_b32_sdwa v2, v25, s58 dst_sel:DWORD dst_unused:UNUSED_PAD src0_sel:BYTE_3 src1_sel:DWORD
	v_and_b32_e32 v30, 0x7f800000, v25
	v_and_b32_e32 v10, 0x7fffff, v25
	v_or_b32_e32 v28, 0x7e, v2
	v_cmp_ne_u64_e32 vcc, s[62:63], v[30:31]
	s_and_saveexec_b64 s[2:3], vcc
	s_xor_b64 s[10:11], exec, s[2:3]
	s_cbranch_execz .LBB19_542
; %bb.529:                              ;   in Loop: Header=BB19_496 Depth=2
	v_and_b32_e32 v30, 0x7fffffff, v25
	v_mov_b32_e32 v31, v11
	v_cmp_gt_u64_e32 vcc, s[64:65], v[30:31]
	s_and_saveexec_b64 s[2:3], vcc
	s_xor_b64 s[12:13], exec, s[2:3]
	s_cbranch_execz .LBB19_541
; %bb.530:                              ;   in Loop: Header=BB19_496 Depth=2
	v_cmp_ne_u32_e32 vcc, 0, v25
	v_pk_mov_b32 v[28:29], 0, 0
	s_and_saveexec_b64 s[14:15], vcc
	s_cbranch_execz .LBB19_540
; %bb.531:                              ;   in Loop: Header=BB19_496 Depth=2
	v_bfe_u32 v25, v25, 23, 8
	v_sub_u32_e32 v28, 0x79, v25
	v_cmp_gt_u32_e32 vcc, s59, v25
	v_add_u32_e32 v27, 0xffffff81, v25
	v_cndmask_b32_e32 v28, 0, v28, vcc
	v_cmp_eq_u32_e32 vcc, 0, v25
	v_cndmask_b32_e32 v25, v27, v88, vcc
	v_cndmask_b32_e32 v27, v28, v89, vcc
	v_or_b32_e32 v29, 0x800000, v10
	v_add_u32_e32 v28, 20, v27
	v_cndmask_b32_e32 v10, v29, v10, vcc
	v_lshlrev_b64 v[28:29], v28, -1
	v_not_b32_e32 v28, v28
	v_lshrrev_b64 v[32:33], v27, v[10:11]
	v_not_b32_e32 v29, v29
	v_and_b32_e32 v28, v10, v28
	v_add_u32_e32 v30, 19, v27
	v_lshrrev_b32_e32 v10, 23, v32
	v_and_b32_e32 v29, 0, v29
	v_lshlrev_b64 v[30:31], v30, 1
	v_add3_u32 v27, v27, v25, v10
	v_bfe_u32 v10, v32, 20, 1
	v_add_u32_e32 v10, -1, v10
	v_cmp_eq_u64_e32 vcc, v[28:29], v[30:31]
	v_cndmask_b32_e32 v10, 0, v10, vcc
	v_add_u32_e32 v10, v10, v32
	v_and_b32_e32 v10, 0xfffff, v10
	v_add_co_u32_e32 v28, vcc, v10, v32
	v_add_u32_e32 v25, 6, v27
	v_addc_co_u32_e32 v29, vcc, 0, v33, vcc
	v_cmp_ne_u32_e32 vcc, 0, v25
                                        ; implicit-def: $vgpr10
	s_and_saveexec_b64 s[2:3], vcc
	s_xor_b64 s[2:3], exec, s[2:3]
; %bb.532:                              ;   in Loop: Header=BB19_496 Depth=2
	v_add_u32_e32 v10, 7, v27
	v_cmp_lt_u64_e32 vcc, s[66:67], v[28:29]
	v_cndmask_b32_e32 v10, v25, v10, vcc
	v_cndmask_b32_e64 v25, 0, 1, vcc
	v_lshrrev_b64 v[28:29], v25, v[28:29]
; %bb.533:                              ;   in Loop: Header=BB19_496 Depth=2
	s_andn2_saveexec_b64 s[2:3], s[2:3]
; %bb.534:                              ;   in Loop: Header=BB19_496 Depth=2
	v_bfe_u32 v10, v28, 23, 1
; %bb.535:                              ;   in Loop: Header=BB19_496 Depth=2
	s_or_b64 exec, exec, s[2:3]
	v_lshrrev_b64 v[28:29], 20, v[28:29]
	v_cmp_gt_i32_e32 vcc, 16, v10
	v_cndmask_b32_e32 v31, 0, v29, vcc
	v_cndmask_b32_e32 v30, 7, v28, vcc
	v_cmp_ne_u32_e32 vcc, 0, v10
	v_cmp_ne_u64_e64 s[2:3], 0, v[30:31]
	s_or_b64 s[2:3], vcc, s[2:3]
                                        ; implicit-def: $vgpr28_vgpr29
	s_and_saveexec_b64 s[16:17], s[2:3]
	s_xor_b64 s[2:3], exec, s[16:17]
; %bb.536:                              ;   in Loop: Header=BB19_496 Depth=2
	v_min_i32_e32 v10, 15, v10
	v_lshl_or_b32 v2, v10, 3, v2
	v_and_or_b32 v28, v30, 7, v2
                                        ; implicit-def: $vgpr2
; %bb.537:                              ;   in Loop: Header=BB19_496 Depth=2
	s_andn2_saveexec_b64 s[2:3], s[2:3]
; %bb.538:                              ;   in Loop: Header=BB19_496 Depth=2
	v_pk_mov_b32 v[28:29], v[2:3], v[2:3] op_sel:[0,1]
; %bb.539:                              ;   in Loop: Header=BB19_496 Depth=2
	s_or_b64 exec, exec, s[2:3]
.LBB19_540:                             ;   in Loop: Header=BB19_496 Depth=2
	s_or_b64 exec, exec, s[14:15]
.LBB19_541:                             ;   in Loop: Header=BB19_496 Depth=2
	s_andn2_saveexec_b64 s[2:3], s[12:13]
	s_or_b64 exec, exec, s[2:3]
                                        ; implicit-def: $vgpr25
.LBB19_542:                             ;   in Loop: Header=BB19_496 Depth=2
	s_andn2_saveexec_b64 s[2:3], s[10:11]
; %bb.543:                              ;   in Loop: Header=BB19_496 Depth=2
	v_or_b32_sdwa v2, v25, s40 dst_sel:DWORD dst_unused:UNUSED_PAD src0_sel:BYTE_3 src1_sel:DWORD
	v_cmp_eq_u64_e32 vcc, 0, v[10:11]
	v_cndmask_b32_e32 v28, v2, v28, vcc
; %bb.544:                              ;   in Loop: Header=BB19_496 Depth=2
	s_or_b64 exec, exec, s[2:3]
	v_and_b32_e32 v2, 0xffff0000, v3
	v_div_scale_f32 v3, s[2:3], s33, s33, v2
	v_rcp_f32_e32 v10, v3
	v_div_scale_f32 v25, vcc, v2, s33, v2
	v_mov_b32_e32 v33, v11
	v_fma_f32 v27, -v3, v10, 1.0
	v_fmac_f32_e32 v10, v27, v10
	v_mul_f32_e32 v27, v25, v10
	v_fma_f32 v29, -v3, v27, v25
	v_fmac_f32_e32 v27, v29, v10
	v_fma_f32 v3, -v3, v27, v25
	v_div_fmas_f32 v3, v3, v10, v27
	v_div_fixup_f32 v25, v3, s33, v2
	v_and_b32_sdwa v30, v25, s58 dst_sel:DWORD dst_unused:UNUSED_PAD src0_sel:BYTE_3 src1_sel:DWORD
	v_and_b32_e32 v32, 0x7f800000, v25
	v_and_b32_e32 v10, 0x7fffff, v25
	v_or_b32_e32 v2, 0x7e, v30
	v_cmp_ne_u64_e32 vcc, s[62:63], v[32:33]
	s_and_saveexec_b64 s[2:3], vcc
	s_xor_b64 s[10:11], exec, s[2:3]
	s_cbranch_execz .LBB19_558
; %bb.545:                              ;   in Loop: Header=BB19_496 Depth=2
	v_and_b32_e32 v32, 0x7fffffff, v25
	v_mov_b32_e32 v33, v11
	v_cmp_gt_u64_e32 vcc, s[64:65], v[32:33]
	s_and_saveexec_b64 s[2:3], vcc
	s_xor_b64 s[12:13], exec, s[2:3]
	s_cbranch_execz .LBB19_557
; %bb.546:                              ;   in Loop: Header=BB19_496 Depth=2
	v_cmp_ne_u32_e32 vcc, 0, v25
	v_pk_mov_b32 v[2:3], 0, 0
	s_and_saveexec_b64 s[14:15], vcc
	s_cbranch_execz .LBB19_556
; %bb.547:                              ;   in Loop: Header=BB19_496 Depth=2
	v_bfe_u32 v2, v25, 23, 8
	v_sub_u32_e32 v25, 0x79, v2
	v_cmp_gt_u32_e32 vcc, s59, v2
	v_cndmask_b32_e32 v25, 0, v25, vcc
	v_cmp_eq_u32_e32 vcc, 0, v2
	v_cndmask_b32_e32 v25, v25, v89, vcc
	v_add_u32_e32 v3, 0xffffff81, v2
	v_or_b32_e32 v27, 0x800000, v10
	v_add_u32_e32 v2, 20, v25
	v_cndmask_b32_e32 v29, v3, v88, vcc
	v_cndmask_b32_e32 v10, v27, v10, vcc
	v_lshlrev_b64 v[2:3], v2, -1
	v_not_b32_e32 v2, v2
	v_lshrrev_b64 v[34:35], v25, v[10:11]
	v_not_b32_e32 v3, v3
	v_and_b32_e32 v2, v10, v2
	v_add_u32_e32 v27, 19, v25
	v_lshrrev_b32_e32 v10, 23, v34
	v_and_b32_e32 v3, 0, v3
	v_lshlrev_b64 v[32:33], v27, 1
	v_add3_u32 v27, v25, v29, v10
	v_bfe_u32 v10, v34, 20, 1
	v_add_u32_e32 v10, -1, v10
	v_cmp_eq_u64_e32 vcc, v[2:3], v[32:33]
	v_cndmask_b32_e32 v2, 0, v10, vcc
	v_add_u32_e32 v2, v2, v34
	v_and_b32_e32 v2, 0xfffff, v2
	v_add_co_u32_e32 v2, vcc, v2, v34
	v_add_u32_e32 v25, 6, v27
	v_addc_co_u32_e32 v3, vcc, 0, v35, vcc
	v_cmp_ne_u32_e32 vcc, 0, v25
                                        ; implicit-def: $vgpr10
	s_and_saveexec_b64 s[2:3], vcc
	s_xor_b64 s[2:3], exec, s[2:3]
; %bb.548:                              ;   in Loop: Header=BB19_496 Depth=2
	v_add_u32_e32 v10, 7, v27
	v_cmp_lt_u64_e32 vcc, s[66:67], v[2:3]
	v_cndmask_b32_e32 v10, v25, v10, vcc
	v_cndmask_b32_e64 v25, 0, 1, vcc
	v_lshrrev_b64 v[2:3], v25, v[2:3]
; %bb.549:                              ;   in Loop: Header=BB19_496 Depth=2
	s_andn2_saveexec_b64 s[2:3], s[2:3]
; %bb.550:                              ;   in Loop: Header=BB19_496 Depth=2
	v_bfe_u32 v10, v2, 23, 1
; %bb.551:                              ;   in Loop: Header=BB19_496 Depth=2
	s_or_b64 exec, exec, s[2:3]
	v_lshrrev_b64 v[2:3], 20, v[2:3]
	v_cmp_gt_i32_e32 vcc, 16, v10
	v_cndmask_b32_e32 v33, 0, v3, vcc
	v_cndmask_b32_e32 v32, 7, v2, vcc
	v_cmp_ne_u32_e32 vcc, 0, v10
	v_cmp_ne_u64_e64 s[2:3], 0, v[32:33]
	s_or_b64 s[2:3], vcc, s[2:3]
                                        ; implicit-def: $vgpr2_vgpr3
	s_and_saveexec_b64 s[16:17], s[2:3]
	s_xor_b64 s[2:3], exec, s[16:17]
; %bb.552:                              ;   in Loop: Header=BB19_496 Depth=2
	v_min_i32_e32 v2, 15, v10
	v_lshl_or_b32 v2, v2, 3, v30
	v_and_or_b32 v2, v32, 7, v2
                                        ; implicit-def: $vgpr30
; %bb.553:                              ;   in Loop: Header=BB19_496 Depth=2
	s_andn2_saveexec_b64 s[2:3], s[2:3]
; %bb.554:                              ;   in Loop: Header=BB19_496 Depth=2
	v_pk_mov_b32 v[2:3], v[30:31], v[30:31] op_sel:[0,1]
; %bb.555:                              ;   in Loop: Header=BB19_496 Depth=2
	s_or_b64 exec, exec, s[2:3]
.LBB19_556:                             ;   in Loop: Header=BB19_496 Depth=2
	s_or_b64 exec, exec, s[14:15]
.LBB19_557:                             ;   in Loop: Header=BB19_496 Depth=2
	s_andn2_saveexec_b64 s[2:3], s[12:13]
	s_or_b64 exec, exec, s[2:3]
                                        ; implicit-def: $vgpr25
.LBB19_558:                             ;   in Loop: Header=BB19_496 Depth=2
	s_andn2_saveexec_b64 s[2:3], s[10:11]
; %bb.559:                              ;   in Loop: Header=BB19_496 Depth=2
	v_or_b32_sdwa v3, v25, s40 dst_sel:DWORD dst_unused:UNUSED_PAD src0_sel:BYTE_3 src1_sel:DWORD
	v_cmp_eq_u64_e32 vcc, 0, v[10:11]
	v_cndmask_b32_e32 v2, v3, v2, vcc
; %bb.560:                              ;   in Loop: Header=BB19_496 Depth=2
	s_or_b64 exec, exec, s[2:3]
	v_lshlrev_b32_e32 v3, 16, v4
	v_div_scale_f32 v10, s[2:3], s33, s33, v3
	v_rcp_f32_e32 v25, v10
	v_div_scale_f32 v27, vcc, v3, s33, v3
	v_mov_b32_e32 v35, v11
	v_fma_f32 v29, -v10, v25, 1.0
	v_fmac_f32_e32 v25, v29, v25
	v_mul_f32_e32 v29, v27, v25
	v_fma_f32 v30, -v10, v29, v27
	v_fmac_f32_e32 v29, v30, v25
	v_fma_f32 v10, -v10, v29, v27
	v_div_fmas_f32 v10, v10, v25, v29
	v_div_fixup_f32 v3, v10, s33, v3
	v_and_b32_sdwa v32, v3, s58 dst_sel:DWORD dst_unused:UNUSED_PAD src0_sel:BYTE_3 src1_sel:DWORD
	v_and_b32_e32 v34, 0x7f800000, v3
	v_and_b32_e32 v10, 0x7fffff, v3
	v_or_b32_e32 v30, 0x7e, v32
	v_cmp_ne_u64_e32 vcc, s[62:63], v[34:35]
	s_and_saveexec_b64 s[2:3], vcc
	s_xor_b64 s[10:11], exec, s[2:3]
	s_cbranch_execz .LBB19_574
; %bb.561:                              ;   in Loop: Header=BB19_496 Depth=2
	v_and_b32_e32 v34, 0x7fffffff, v3
	v_mov_b32_e32 v35, v11
	v_cmp_gt_u64_e32 vcc, s[64:65], v[34:35]
	s_and_saveexec_b64 s[2:3], vcc
	s_xor_b64 s[12:13], exec, s[2:3]
	s_cbranch_execz .LBB19_573
; %bb.562:                              ;   in Loop: Header=BB19_496 Depth=2
	v_cmp_ne_u32_e32 vcc, 0, v3
	v_pk_mov_b32 v[30:31], 0, 0
	s_and_saveexec_b64 s[14:15], vcc
	s_cbranch_execz .LBB19_572
; %bb.563:                              ;   in Loop: Header=BB19_496 Depth=2
	v_bfe_u32 v3, v3, 23, 8
	v_sub_u32_e32 v27, 0x79, v3
	v_cmp_gt_u32_e32 vcc, s59, v3
	v_add_u32_e32 v25, 0xffffff81, v3
	v_cndmask_b32_e32 v27, 0, v27, vcc
	v_cmp_eq_u32_e32 vcc, 0, v3
	v_cndmask_b32_e32 v3, v25, v88, vcc
	v_cndmask_b32_e32 v25, v27, v89, vcc
	v_or_b32_e32 v29, 0x800000, v10
	v_add_u32_e32 v27, 20, v25
	v_cndmask_b32_e32 v10, v29, v10, vcc
	v_lshlrev_b64 v[30:31], v27, -1
	v_not_b32_e32 v27, v31
	v_not_b32_e32 v29, v30
	v_lshrrev_b64 v[36:37], v25, v[10:11]
	v_and_b32_e32 v31, 0, v27
	v_and_b32_e32 v30, v10, v29
	v_add_u32_e32 v27, 19, v25
	v_lshrrev_b32_e32 v10, 23, v36
	v_lshlrev_b64 v[34:35], v27, 1
	v_add3_u32 v25, v25, v3, v10
	v_bfe_u32 v3, v36, 20, 1
	v_add_u32_e32 v3, -1, v3
	v_cmp_eq_u64_e32 vcc, v[30:31], v[34:35]
	v_cndmask_b32_e32 v3, 0, v3, vcc
	v_add_u32_e32 v3, v3, v36
	v_and_b32_e32 v3, 0xfffff, v3
	v_add_co_u32_e32 v30, vcc, v3, v36
	v_add_u32_e32 v10, 6, v25
	v_addc_co_u32_e32 v31, vcc, 0, v37, vcc
	v_cmp_ne_u32_e32 vcc, 0, v10
                                        ; implicit-def: $vgpr3
	s_and_saveexec_b64 s[2:3], vcc
	s_xor_b64 s[2:3], exec, s[2:3]
; %bb.564:                              ;   in Loop: Header=BB19_496 Depth=2
	v_add_u32_e32 v3, 7, v25
	v_cmp_lt_u64_e32 vcc, s[66:67], v[30:31]
	v_cndmask_b32_e32 v3, v10, v3, vcc
	v_cndmask_b32_e64 v10, 0, 1, vcc
	v_lshrrev_b64 v[30:31], v10, v[30:31]
; %bb.565:                              ;   in Loop: Header=BB19_496 Depth=2
	s_andn2_saveexec_b64 s[2:3], s[2:3]
; %bb.566:                              ;   in Loop: Header=BB19_496 Depth=2
	v_bfe_u32 v3, v30, 23, 1
; %bb.567:                              ;   in Loop: Header=BB19_496 Depth=2
	s_or_b64 exec, exec, s[2:3]
	v_lshrrev_b64 v[30:31], 20, v[30:31]
	v_cmp_gt_i32_e32 vcc, 16, v3
	v_cndmask_b32_e32 v35, 0, v31, vcc
	v_cndmask_b32_e32 v34, 7, v30, vcc
	v_cmp_ne_u32_e32 vcc, 0, v3
	v_cmp_ne_u64_e64 s[2:3], 0, v[34:35]
	s_or_b64 s[2:3], vcc, s[2:3]
                                        ; implicit-def: $vgpr30_vgpr31
	s_and_saveexec_b64 s[16:17], s[2:3]
	s_xor_b64 s[2:3], exec, s[16:17]
; %bb.568:                              ;   in Loop: Header=BB19_496 Depth=2
	v_min_i32_e32 v3, 15, v3
	v_lshl_or_b32 v3, v3, 3, v32
	v_and_or_b32 v30, v34, 7, v3
                                        ; implicit-def: $vgpr32
; %bb.569:                              ;   in Loop: Header=BB19_496 Depth=2
	s_andn2_saveexec_b64 s[2:3], s[2:3]
; %bb.570:                              ;   in Loop: Header=BB19_496 Depth=2
	v_pk_mov_b32 v[30:31], v[32:33], v[32:33] op_sel:[0,1]
; %bb.571:                              ;   in Loop: Header=BB19_496 Depth=2
	s_or_b64 exec, exec, s[2:3]
.LBB19_572:                             ;   in Loop: Header=BB19_496 Depth=2
	s_or_b64 exec, exec, s[14:15]
.LBB19_573:                             ;   in Loop: Header=BB19_496 Depth=2
	s_andn2_saveexec_b64 s[2:3], s[12:13]
	s_or_b64 exec, exec, s[2:3]
                                        ; implicit-def: $vgpr3
.LBB19_574:                             ;   in Loop: Header=BB19_496 Depth=2
	s_andn2_saveexec_b64 s[2:3], s[10:11]
; %bb.575:                              ;   in Loop: Header=BB19_496 Depth=2
	v_or_b32_sdwa v3, v3, s40 dst_sel:DWORD dst_unused:UNUSED_PAD src0_sel:BYTE_3 src1_sel:DWORD
	v_cmp_eq_u64_e32 vcc, 0, v[10:11]
	v_cndmask_b32_e32 v30, v3, v30, vcc
; %bb.576:                              ;   in Loop: Header=BB19_496 Depth=2
	s_or_b64 exec, exec, s[2:3]
	v_and_b32_e32 v3, 0xffff0000, v4
	v_div_scale_f32 v4, s[2:3], s33, s33, v3
	v_rcp_f32_e32 v10, v4
	v_div_scale_f32 v25, vcc, v3, s33, v3
	v_mov_b32_e32 v35, v11
	v_fma_f32 v27, -v4, v10, 1.0
	v_fmac_f32_e32 v10, v27, v10
	v_mul_f32_e32 v27, v25, v10
	v_fma_f32 v29, -v4, v27, v25
	v_fmac_f32_e32 v27, v29, v10
	v_fma_f32 v4, -v4, v27, v25
	v_div_fmas_f32 v4, v4, v10, v27
	v_div_fixup_f32 v3, v4, s33, v3
	v_and_b32_sdwa v4, v3, s58 dst_sel:DWORD dst_unused:UNUSED_PAD src0_sel:BYTE_3 src1_sel:DWORD
	v_and_b32_e32 v34, 0x7f800000, v3
	v_and_b32_e32 v10, 0x7fffff, v3
	v_or_b32_e32 v32, 0x7e, v4
	v_cmp_ne_u64_e32 vcc, s[62:63], v[34:35]
	s_and_saveexec_b64 s[2:3], vcc
	s_xor_b64 s[10:11], exec, s[2:3]
	s_cbranch_execz .LBB19_590
; %bb.577:                              ;   in Loop: Header=BB19_496 Depth=2
	v_and_b32_e32 v34, 0x7fffffff, v3
	v_mov_b32_e32 v35, v11
	v_cmp_gt_u64_e32 vcc, s[64:65], v[34:35]
	s_and_saveexec_b64 s[2:3], vcc
	s_xor_b64 s[12:13], exec, s[2:3]
	s_cbranch_execz .LBB19_589
; %bb.578:                              ;   in Loop: Header=BB19_496 Depth=2
	v_cmp_ne_u32_e32 vcc, 0, v3
	v_pk_mov_b32 v[32:33], 0, 0
	s_and_saveexec_b64 s[14:15], vcc
	s_cbranch_execz .LBB19_588
; %bb.579:                              ;   in Loop: Header=BB19_496 Depth=2
	v_bfe_u32 v3, v3, 23, 8
	v_sub_u32_e32 v27, 0x79, v3
	v_cmp_gt_u32_e32 vcc, s59, v3
	v_add_u32_e32 v25, 0xffffff81, v3
	v_cndmask_b32_e32 v27, 0, v27, vcc
	v_cmp_eq_u32_e32 vcc, 0, v3
	v_cndmask_b32_e32 v3, v25, v88, vcc
	v_cndmask_b32_e32 v25, v27, v89, vcc
	v_or_b32_e32 v29, 0x800000, v10
	v_add_u32_e32 v27, 20, v25
	v_cndmask_b32_e32 v10, v29, v10, vcc
	v_lshlrev_b64 v[32:33], v27, -1
	v_not_b32_e32 v27, v33
	v_not_b32_e32 v29, v32
	v_lshrrev_b64 v[36:37], v25, v[10:11]
	v_and_b32_e32 v33, 0, v27
	v_and_b32_e32 v32, v10, v29
	v_add_u32_e32 v27, 19, v25
	v_lshrrev_b32_e32 v10, 23, v36
	v_lshlrev_b64 v[34:35], v27, 1
	v_add3_u32 v25, v25, v3, v10
	v_bfe_u32 v3, v36, 20, 1
	v_add_u32_e32 v3, -1, v3
	v_cmp_eq_u64_e32 vcc, v[32:33], v[34:35]
	v_cndmask_b32_e32 v3, 0, v3, vcc
	v_add_u32_e32 v3, v3, v36
	v_and_b32_e32 v3, 0xfffff, v3
	v_add_co_u32_e32 v32, vcc, v3, v36
	v_add_u32_e32 v10, 6, v25
	v_addc_co_u32_e32 v33, vcc, 0, v37, vcc
	v_cmp_ne_u32_e32 vcc, 0, v10
                                        ; implicit-def: $vgpr3
	s_and_saveexec_b64 s[2:3], vcc
	s_xor_b64 s[2:3], exec, s[2:3]
; %bb.580:                              ;   in Loop: Header=BB19_496 Depth=2
	v_add_u32_e32 v3, 7, v25
	v_cmp_lt_u64_e32 vcc, s[66:67], v[32:33]
	v_cndmask_b32_e32 v3, v10, v3, vcc
	v_cndmask_b32_e64 v10, 0, 1, vcc
	v_lshrrev_b64 v[32:33], v10, v[32:33]
; %bb.581:                              ;   in Loop: Header=BB19_496 Depth=2
	s_andn2_saveexec_b64 s[2:3], s[2:3]
; %bb.582:                              ;   in Loop: Header=BB19_496 Depth=2
	v_bfe_u32 v3, v32, 23, 1
; %bb.583:                              ;   in Loop: Header=BB19_496 Depth=2
	s_or_b64 exec, exec, s[2:3]
	v_lshrrev_b64 v[32:33], 20, v[32:33]
	v_cmp_gt_i32_e32 vcc, 16, v3
	v_cndmask_b32_e32 v35, 0, v33, vcc
	v_cndmask_b32_e32 v34, 7, v32, vcc
	v_cmp_ne_u32_e32 vcc, 0, v3
	v_cmp_ne_u64_e64 s[2:3], 0, v[34:35]
	s_or_b64 s[2:3], vcc, s[2:3]
                                        ; implicit-def: $vgpr32_vgpr33
	s_and_saveexec_b64 s[16:17], s[2:3]
	s_xor_b64 s[2:3], exec, s[16:17]
; %bb.584:                              ;   in Loop: Header=BB19_496 Depth=2
	v_min_i32_e32 v3, 15, v3
	v_lshl_or_b32 v3, v3, 3, v4
	v_and_or_b32 v32, v34, 7, v3
                                        ; implicit-def: $vgpr4
; %bb.585:                              ;   in Loop: Header=BB19_496 Depth=2
	s_andn2_saveexec_b64 s[2:3], s[2:3]
; %bb.586:                              ;   in Loop: Header=BB19_496 Depth=2
	v_pk_mov_b32 v[32:33], v[4:5], v[4:5] op_sel:[0,1]
; %bb.587:                              ;   in Loop: Header=BB19_496 Depth=2
	s_or_b64 exec, exec, s[2:3]
.LBB19_588:                             ;   in Loop: Header=BB19_496 Depth=2
	s_or_b64 exec, exec, s[14:15]
.LBB19_589:                             ;   in Loop: Header=BB19_496 Depth=2
	s_andn2_saveexec_b64 s[2:3], s[12:13]
	s_or_b64 exec, exec, s[2:3]
                                        ; implicit-def: $vgpr3
.LBB19_590:                             ;   in Loop: Header=BB19_496 Depth=2
	s_andn2_saveexec_b64 s[2:3], s[10:11]
; %bb.591:                              ;   in Loop: Header=BB19_496 Depth=2
	v_or_b32_sdwa v3, v3, s40 dst_sel:DWORD dst_unused:UNUSED_PAD src0_sel:BYTE_3 src1_sel:DWORD
	v_cmp_eq_u64_e32 vcc, 0, v[10:11]
	v_cndmask_b32_e32 v32, v3, v32, vcc
; %bb.592:                              ;   in Loop: Header=BB19_496 Depth=2
	s_or_b64 exec, exec, s[2:3]
	v_lshlrev_b32_e32 v3, 16, v5
	v_div_scale_f32 v4, s[2:3], s33, s33, v3
	v_rcp_f32_e32 v10, v4
	v_div_scale_f32 v25, vcc, v3, s33, v3
	v_mov_b32_e32 v37, v11
	v_fma_f32 v27, -v4, v10, 1.0
	v_fmac_f32_e32 v10, v27, v10
	v_mul_f32_e32 v27, v25, v10
	v_fma_f32 v29, -v4, v27, v25
	v_fmac_f32_e32 v27, v29, v10
	v_fma_f32 v4, -v4, v27, v25
	v_div_fmas_f32 v4, v4, v10, v27
	v_div_fixup_f32 v3, v4, s33, v3
	v_and_b32_sdwa v4, v3, s58 dst_sel:DWORD dst_unused:UNUSED_PAD src0_sel:BYTE_3 src1_sel:DWORD
	v_and_b32_e32 v36, 0x7f800000, v3
	v_and_b32_e32 v10, 0x7fffff, v3
	v_or_b32_e32 v34, 0x7e, v4
	v_cmp_ne_u64_e32 vcc, s[62:63], v[36:37]
	s_and_saveexec_b64 s[2:3], vcc
	s_xor_b64 s[10:11], exec, s[2:3]
	s_cbranch_execz .LBB19_606
; %bb.593:                              ;   in Loop: Header=BB19_496 Depth=2
	v_and_b32_e32 v36, 0x7fffffff, v3
	v_mov_b32_e32 v37, v11
	v_cmp_gt_u64_e32 vcc, s[64:65], v[36:37]
	s_and_saveexec_b64 s[2:3], vcc
	s_xor_b64 s[12:13], exec, s[2:3]
	s_cbranch_execz .LBB19_605
; %bb.594:                              ;   in Loop: Header=BB19_496 Depth=2
	v_cmp_ne_u32_e32 vcc, 0, v3
	v_pk_mov_b32 v[34:35], 0, 0
	s_and_saveexec_b64 s[14:15], vcc
	s_cbranch_execz .LBB19_604
; %bb.595:                              ;   in Loop: Header=BB19_496 Depth=2
	v_bfe_u32 v3, v3, 23, 8
	v_sub_u32_e32 v27, 0x79, v3
	v_cmp_gt_u32_e32 vcc, s59, v3
	v_add_u32_e32 v25, 0xffffff81, v3
	v_cndmask_b32_e32 v27, 0, v27, vcc
	v_cmp_eq_u32_e32 vcc, 0, v3
	v_cndmask_b32_e32 v3, v25, v88, vcc
	v_cndmask_b32_e32 v25, v27, v89, vcc
	v_or_b32_e32 v29, 0x800000, v10
	v_add_u32_e32 v27, 20, v25
	v_cndmask_b32_e32 v10, v29, v10, vcc
	v_lshlrev_b64 v[34:35], v27, -1
	v_not_b32_e32 v27, v35
	v_not_b32_e32 v29, v34
	v_lshrrev_b64 v[38:39], v25, v[10:11]
	v_and_b32_e32 v35, 0, v27
	v_and_b32_e32 v34, v10, v29
	v_add_u32_e32 v27, 19, v25
	v_lshrrev_b32_e32 v10, 23, v38
	v_lshlrev_b64 v[36:37], v27, 1
	v_add3_u32 v25, v25, v3, v10
	v_bfe_u32 v3, v38, 20, 1
	v_add_u32_e32 v3, -1, v3
	v_cmp_eq_u64_e32 vcc, v[34:35], v[36:37]
	v_cndmask_b32_e32 v3, 0, v3, vcc
	v_add_u32_e32 v3, v3, v38
	v_and_b32_e32 v3, 0xfffff, v3
	v_add_co_u32_e32 v34, vcc, v3, v38
	v_add_u32_e32 v10, 6, v25
	v_addc_co_u32_e32 v35, vcc, 0, v39, vcc
	v_cmp_ne_u32_e32 vcc, 0, v10
                                        ; implicit-def: $vgpr3
	s_and_saveexec_b64 s[2:3], vcc
	s_xor_b64 s[2:3], exec, s[2:3]
; %bb.596:                              ;   in Loop: Header=BB19_496 Depth=2
	v_add_u32_e32 v3, 7, v25
	v_cmp_lt_u64_e32 vcc, s[66:67], v[34:35]
	v_cndmask_b32_e32 v3, v10, v3, vcc
	v_cndmask_b32_e64 v10, 0, 1, vcc
	v_lshrrev_b64 v[34:35], v10, v[34:35]
; %bb.597:                              ;   in Loop: Header=BB19_496 Depth=2
	s_andn2_saveexec_b64 s[2:3], s[2:3]
; %bb.598:                              ;   in Loop: Header=BB19_496 Depth=2
	v_bfe_u32 v3, v34, 23, 1
; %bb.599:                              ;   in Loop: Header=BB19_496 Depth=2
	s_or_b64 exec, exec, s[2:3]
	v_lshrrev_b64 v[34:35], 20, v[34:35]
	v_cmp_gt_i32_e32 vcc, 16, v3
	v_cndmask_b32_e32 v37, 0, v35, vcc
	v_cndmask_b32_e32 v36, 7, v34, vcc
	v_cmp_ne_u32_e32 vcc, 0, v3
	v_cmp_ne_u64_e64 s[2:3], 0, v[36:37]
	s_or_b64 s[2:3], vcc, s[2:3]
                                        ; implicit-def: $vgpr34_vgpr35
	s_and_saveexec_b64 s[16:17], s[2:3]
	s_xor_b64 s[2:3], exec, s[16:17]
; %bb.600:                              ;   in Loop: Header=BB19_496 Depth=2
	v_min_i32_e32 v3, 15, v3
	v_lshl_or_b32 v3, v3, 3, v4
	v_and_or_b32 v34, v36, 7, v3
                                        ; implicit-def: $vgpr4
; %bb.601:                              ;   in Loop: Header=BB19_496 Depth=2
	s_andn2_saveexec_b64 s[2:3], s[2:3]
; %bb.602:                              ;   in Loop: Header=BB19_496 Depth=2
	v_pk_mov_b32 v[34:35], v[4:5], v[4:5] op_sel:[0,1]
; %bb.603:                              ;   in Loop: Header=BB19_496 Depth=2
	s_or_b64 exec, exec, s[2:3]
.LBB19_604:                             ;   in Loop: Header=BB19_496 Depth=2
	s_or_b64 exec, exec, s[14:15]
.LBB19_605:                             ;   in Loop: Header=BB19_496 Depth=2
	s_andn2_saveexec_b64 s[2:3], s[12:13]
	s_or_b64 exec, exec, s[2:3]
                                        ; implicit-def: $vgpr3
.LBB19_606:                             ;   in Loop: Header=BB19_496 Depth=2
	s_andn2_saveexec_b64 s[2:3], s[10:11]
; %bb.607:                              ;   in Loop: Header=BB19_496 Depth=2
	v_or_b32_sdwa v3, v3, s40 dst_sel:DWORD dst_unused:UNUSED_PAD src0_sel:BYTE_3 src1_sel:DWORD
	v_cmp_eq_u64_e32 vcc, 0, v[10:11]
	v_cndmask_b32_e32 v34, v3, v34, vcc
; %bb.608:                              ;   in Loop: Header=BB19_496 Depth=2
	s_or_b64 exec, exec, s[2:3]
	v_and_b32_e32 v3, 0xffff0000, v5
	v_div_scale_f32 v4, s[2:3], s33, s33, v3
	v_rcp_f32_e32 v5, v4
	v_div_scale_f32 v10, vcc, v3, s33, v3
	v_mov_b32_e32 v39, v11
	v_fma_f32 v25, -v4, v5, 1.0
	v_fmac_f32_e32 v5, v25, v5
	v_mul_f32_e32 v25, v10, v5
	v_fma_f32 v27, -v4, v25, v10
	v_fmac_f32_e32 v25, v27, v5
	v_fma_f32 v4, -v4, v25, v10
	v_div_fmas_f32 v4, v4, v5, v25
	v_div_fixup_f32 v3, v4, s33, v3
	v_and_b32_sdwa v4, v3, s58 dst_sel:DWORD dst_unused:UNUSED_PAD src0_sel:BYTE_3 src1_sel:DWORD
	v_and_b32_e32 v38, 0x7f800000, v3
	v_and_b32_e32 v10, 0x7fffff, v3
	v_or_b32_e32 v36, 0x7e, v4
	v_cmp_ne_u64_e32 vcc, s[62:63], v[38:39]
	s_and_saveexec_b64 s[2:3], vcc
	s_xor_b64 s[10:11], exec, s[2:3]
	s_cbranch_execz .LBB19_622
; %bb.609:                              ;   in Loop: Header=BB19_496 Depth=2
	v_and_b32_e32 v38, 0x7fffffff, v3
	v_mov_b32_e32 v39, v11
	v_cmp_gt_u64_e32 vcc, s[64:65], v[38:39]
	s_and_saveexec_b64 s[2:3], vcc
	s_xor_b64 s[12:13], exec, s[2:3]
	s_cbranch_execz .LBB19_621
; %bb.610:                              ;   in Loop: Header=BB19_496 Depth=2
	v_cmp_ne_u32_e32 vcc, 0, v3
	v_pk_mov_b32 v[36:37], 0, 0
	s_and_saveexec_b64 s[14:15], vcc
	s_cbranch_execz .LBB19_620
; %bb.611:                              ;   in Loop: Header=BB19_496 Depth=2
	v_bfe_u32 v3, v3, 23, 8
	v_sub_u32_e32 v25, 0x79, v3
	v_cmp_gt_u32_e32 vcc, s59, v3
	v_add_u32_e32 v5, 0xffffff81, v3
	v_cndmask_b32_e32 v25, 0, v25, vcc
	v_cmp_eq_u32_e32 vcc, 0, v3
	v_cndmask_b32_e32 v3, v5, v88, vcc
	v_cndmask_b32_e32 v5, v25, v89, vcc
	v_or_b32_e32 v27, 0x800000, v10
	v_add_u32_e32 v25, 20, v5
	v_cndmask_b32_e32 v10, v27, v10, vcc
	v_lshlrev_b64 v[36:37], v25, -1
	v_not_b32_e32 v25, v37
	v_not_b32_e32 v27, v36
	v_lshrrev_b64 v[40:41], v5, v[10:11]
	v_and_b32_e32 v37, 0, v25
	v_and_b32_e32 v36, v10, v27
	v_add_u32_e32 v25, 19, v5
	v_lshrrev_b32_e32 v10, 23, v40
	v_lshlrev_b64 v[38:39], v25, 1
	v_add3_u32 v10, v5, v3, v10
	v_bfe_u32 v3, v40, 20, 1
	v_add_u32_e32 v3, -1, v3
	v_cmp_eq_u64_e32 vcc, v[36:37], v[38:39]
	v_cndmask_b32_e32 v3, 0, v3, vcc
	v_add_u32_e32 v3, v3, v40
	v_and_b32_e32 v3, 0xfffff, v3
	v_add_co_u32_e32 v36, vcc, v3, v40
	v_add_u32_e32 v5, 6, v10
	v_addc_co_u32_e32 v37, vcc, 0, v41, vcc
	v_cmp_ne_u32_e32 vcc, 0, v5
                                        ; implicit-def: $vgpr3
	s_and_saveexec_b64 s[2:3], vcc
	s_xor_b64 s[2:3], exec, s[2:3]
; %bb.612:                              ;   in Loop: Header=BB19_496 Depth=2
	v_add_u32_e32 v3, 7, v10
	v_cmp_lt_u64_e32 vcc, s[66:67], v[36:37]
	v_cndmask_b32_e32 v3, v5, v3, vcc
	v_cndmask_b32_e64 v5, 0, 1, vcc
	v_lshrrev_b64 v[36:37], v5, v[36:37]
; %bb.613:                              ;   in Loop: Header=BB19_496 Depth=2
	s_andn2_saveexec_b64 s[2:3], s[2:3]
; %bb.614:                              ;   in Loop: Header=BB19_496 Depth=2
	v_bfe_u32 v3, v36, 23, 1
; %bb.615:                              ;   in Loop: Header=BB19_496 Depth=2
	s_or_b64 exec, exec, s[2:3]
	v_lshrrev_b64 v[36:37], 20, v[36:37]
	v_cmp_gt_i32_e32 vcc, 16, v3
	v_cndmask_b32_e32 v39, 0, v37, vcc
	v_cndmask_b32_e32 v38, 7, v36, vcc
	v_cmp_ne_u32_e32 vcc, 0, v3
	v_cmp_ne_u64_e64 s[2:3], 0, v[38:39]
	s_or_b64 s[2:3], vcc, s[2:3]
                                        ; implicit-def: $vgpr36_vgpr37
	s_and_saveexec_b64 s[16:17], s[2:3]
	s_xor_b64 s[2:3], exec, s[16:17]
; %bb.616:                              ;   in Loop: Header=BB19_496 Depth=2
	v_min_i32_e32 v3, 15, v3
	v_lshl_or_b32 v3, v3, 3, v4
	v_and_or_b32 v36, v38, 7, v3
                                        ; implicit-def: $vgpr4
; %bb.617:                              ;   in Loop: Header=BB19_496 Depth=2
	s_andn2_saveexec_b64 s[2:3], s[2:3]
; %bb.618:                              ;   in Loop: Header=BB19_496 Depth=2
	v_pk_mov_b32 v[36:37], v[4:5], v[4:5] op_sel:[0,1]
; %bb.619:                              ;   in Loop: Header=BB19_496 Depth=2
	s_or_b64 exec, exec, s[2:3]
.LBB19_620:                             ;   in Loop: Header=BB19_496 Depth=2
	s_or_b64 exec, exec, s[14:15]
.LBB19_621:                             ;   in Loop: Header=BB19_496 Depth=2
	s_andn2_saveexec_b64 s[2:3], s[12:13]
	s_or_b64 exec, exec, s[2:3]
                                        ; implicit-def: $vgpr3
.LBB19_622:                             ;   in Loop: Header=BB19_496 Depth=2
	s_andn2_saveexec_b64 s[2:3], s[10:11]
	s_cbranch_execz .LBB19_495
; %bb.623:                              ;   in Loop: Header=BB19_496 Depth=2
	v_or_b32_sdwa v3, v3, s40 dst_sel:DWORD dst_unused:UNUSED_PAD src0_sel:BYTE_3 src1_sel:DWORD
	v_cmp_eq_u64_e32 vcc, 0, v[10:11]
	v_cndmask_b32_e32 v36, v3, v36, vcc
	s_branch .LBB19_495
.LBB19_624:
	v_readlane_b32 s0, v99, 21
	v_readlane_b32 s1, v99, 22
	s_or_b64 exec, exec, s[0:1]
	v_readlane_b32 s60, v99, 5
	v_readlane_b32 s88, v99, 19
	;; [unrolled: 1-line block ×3, first 2 shown]
	s_mov_b64 s[0:1], 0
	v_readlane_b32 s61, v99, 6
	v_readlane_b32 s62, v99, 7
	;; [unrolled: 1-line block ×13, first 2 shown]
.LBB19_625:
	s_andn2_b64 vcc, exec, s[0:1]
	s_cbranch_vccnz .LBB19_1244
; %bb.626:
	s_and_b32 s0, s80, 15
	s_mov_b32 s1, 0
	s_mul_i32 s42, s57, s56
	s_cmp_lg_u64 s[0:1], 0
	s_cselect_b64 s[0:1], -1, 0
	s_and_b32 s2, s42, 7
	s_cmp_eq_u32 s2, 0
	s_cselect_b64 s[38:39], -1, 0
	s_cmp_lg_u32 s2, 0
	s_cselect_b64 s[2:3], -1, 0
	s_or_b64 s[2:3], s[0:1], s[2:3]
	s_mov_b64 s[0:1], -1
	s_and_b64 vcc, exec, s[2:3]
	s_cbranch_vccz .LBB19_803
; %bb.627:
	s_sub_i32 s0, 0, s80
	s_bfe_u32 s0, s0, 0x30001
	s_min_i32 s50, s0, s42
	v_cmp_gt_i32_e32 vcc, s50, v0
	s_and_saveexec_b64 s[2:3], vcc
	s_cbranch_execz .LBB19_647
; %bb.628:
	s_add_u32 s0, s60, s36
	v_mov_b32_e32 v3, 0
	v_lshlrev_b32_e32 v2, 1, v0
	s_addc_u32 s1, s61, s37
	s_mov_b32 s18, 0
	v_mov_b32_e32 v1, v3
	v_mov_b32_e32 v5, s1
	v_add_co_u32_e32 v4, vcc, s0, v2
	v_addc_co_u32_e32 v5, vcc, 0, v5, vcc
	s_lshl_b32 s19, s86, 1
	s_mov_b32 s20, s18
	s_mov_b64 s[4:5], 0
	s_movk_i32 s21, 0x80
	s_mov_b64 s[6:7], 0x7f800000
	s_mov_b64 s[8:9], 0x43e00001
	s_movk_i32 s22, 0x7a
	s_mov_b64 s[10:11], 0xffffff
	s_movk_i32 s23, 0x7f
	v_mov_b32_e32 v10, 0xffffff82
	v_mov_b32_e32 v11, 0x78
	v_pk_mov_b32 v[6:7], v[0:1], v[0:1] op_sel:[0,1]
	s_branch .LBB19_630
.LBB19_629:                             ;   in Loop: Header=BB19_630 Depth=1
	s_or_b64 exec, exec, s[0:1]
	v_mov_b32_e32 v1, s55
	v_add_co_u32_e32 v12, vcc, s43, v6
	v_addc_co_u32_e32 v13, vcc, v1, v7, vcc
	v_mov_b32_e32 v1, s18
	v_add_co_u32_e32 v6, vcc, s86, v6
	v_addc_co_u32_e32 v7, vcc, v7, v1, vcc
	v_cmp_le_i32_e32 vcc, s50, v6
	v_mov_b32_e32 v1, s20
	s_or_b64 s[4:5], vcc, s[4:5]
	v_add_co_u32_e32 v4, vcc, s19, v4
	v_addc_co_u32_e32 v5, vcc, v5, v1, vcc
	global_store_byte v[12:13], v9, off
	s_andn2_b64 exec, exec, s[4:5]
	s_cbranch_execz .LBB19_647
.LBB19_630:                             ; =>This Inner Loop Header: Depth=1
	global_load_ushort v1, v[4:5], off
	v_mov_b32_e32 v13, v3
	s_waitcnt vmcnt(0)
	v_lshlrev_b32_e32 v1, 16, v1
	v_div_scale_f32 v2, s[0:1], s95, s95, v1
	v_rcp_f32_e32 v8, v2
	v_div_scale_f32 v9, vcc, v1, s95, v1
	v_fma_f32 v12, -v2, v8, 1.0
	v_fmac_f32_e32 v8, v12, v8
	v_mul_f32_e32 v12, v9, v8
	v_fma_f32 v14, -v2, v12, v9
	v_fmac_f32_e32 v12, v14, v8
	v_fma_f32 v2, -v2, v12, v9
	v_div_fmas_f32 v2, v2, v8, v12
	v_div_fixup_f32 v8, v2, s95, v1
	v_and_b32_sdwa v1, v8, s21 dst_sel:DWORD dst_unused:UNUSED_PAD src0_sel:BYTE_3 src1_sel:DWORD
	v_and_b32_e32 v12, 0x7f800000, v8
	v_and_b32_e32 v2, 0x7fffff, v8
	v_or_b32_e32 v9, 0x7e, v1
	v_cmp_ne_u64_e32 vcc, s[6:7], v[12:13]
	s_and_saveexec_b64 s[0:1], vcc
	s_xor_b64 s[12:13], exec, s[0:1]
	s_cbranch_execz .LBB19_644
; %bb.631:                              ;   in Loop: Header=BB19_630 Depth=1
	v_and_b32_e32 v12, 0x7fffffff, v8
	v_mov_b32_e32 v13, v3
	v_cmp_gt_u64_e32 vcc, s[8:9], v[12:13]
	s_and_saveexec_b64 s[0:1], vcc
	s_xor_b64 s[14:15], exec, s[0:1]
	s_cbranch_execz .LBB19_643
; %bb.632:                              ;   in Loop: Header=BB19_630 Depth=1
	v_cmp_ne_u32_e32 vcc, 0, v8
	v_mov_b32_e32 v9, 0
	s_and_saveexec_b64 s[16:17], vcc
	s_cbranch_execz .LBB19_642
; %bb.633:                              ;   in Loop: Header=BB19_630 Depth=1
	v_bfe_u32 v8, v8, 23, 8
	v_sub_u32_e32 v12, 0x79, v8
	v_cmp_gt_u32_e32 vcc, s22, v8
	v_cndmask_b32_e32 v12, 0, v12, vcc
	v_cmp_eq_u32_e32 vcc, 0, v8
	v_cndmask_b32_e32 v12, v12, v11, vcc
	v_add_u32_e32 v9, 0xffffff81, v8
	v_or_b32_e32 v13, 0x800000, v2
	v_add_u32_e32 v8, 20, v12
	v_cndmask_b32_e32 v18, v9, v10, vcc
	v_cndmask_b32_e32 v2, v13, v2, vcc
	v_lshlrev_b64 v[8:9], v8, -1
	v_not_b32_e32 v8, v8
	v_lshrrev_b64 v[16:17], v12, v[2:3]
	v_not_b32_e32 v9, v9
	v_and_b32_e32 v8, v2, v8
	v_add_u32_e32 v13, 19, v12
	v_lshrrev_b32_e32 v2, 23, v16
	v_and_b32_e32 v9, 0, v9
	v_lshlrev_b64 v[14:15], v13, 1
	v_add3_u32 v13, v12, v18, v2
	v_bfe_u32 v2, v16, 20, 1
	v_add_u32_e32 v2, -1, v2
	v_cmp_eq_u64_e32 vcc, v[8:9], v[14:15]
	v_cndmask_b32_e32 v2, 0, v2, vcc
	v_add_u32_e32 v2, v2, v16
	v_and_b32_e32 v2, 0xfffff, v2
	v_add_co_u32_e32 v8, vcc, v2, v16
	v_add_u32_e32 v12, 6, v13
	v_addc_co_u32_e32 v9, vcc, 0, v17, vcc
	v_cmp_ne_u32_e32 vcc, 0, v12
                                        ; implicit-def: $vgpr2
	s_and_saveexec_b64 s[0:1], vcc
	s_xor_b64 s[0:1], exec, s[0:1]
; %bb.634:                              ;   in Loop: Header=BB19_630 Depth=1
	v_add_u32_e32 v2, 7, v13
	v_cmp_lt_u64_e32 vcc, s[10:11], v[8:9]
	v_cndmask_b32_e32 v2, v12, v2, vcc
	v_cndmask_b32_e64 v12, 0, 1, vcc
	v_lshrrev_b64 v[8:9], v12, v[8:9]
; %bb.635:                              ;   in Loop: Header=BB19_630 Depth=1
	s_andn2_saveexec_b64 s[0:1], s[0:1]
; %bb.636:                              ;   in Loop: Header=BB19_630 Depth=1
	v_bfe_u32 v2, v8, 23, 1
; %bb.637:                              ;   in Loop: Header=BB19_630 Depth=1
	s_or_b64 exec, exec, s[0:1]
	v_lshrrev_b64 v[8:9], 20, v[8:9]
	v_cmp_gt_i32_e32 vcc, 16, v2
	v_cndmask_b32_e32 v9, 0, v9, vcc
	v_cndmask_b32_e32 v8, 7, v8, vcc
	v_cmp_ne_u32_e32 vcc, 0, v2
	v_cmp_ne_u64_e64 s[0:1], 0, v[8:9]
	s_or_b64 s[0:1], vcc, s[0:1]
                                        ; implicit-def: $vgpr9
	s_and_saveexec_b64 s[24:25], s[0:1]
	s_xor_b64 s[0:1], exec, s[24:25]
; %bb.638:                              ;   in Loop: Header=BB19_630 Depth=1
	v_min_i32_e32 v2, 15, v2
	v_lshl_or_b32 v1, v2, 3, v1
	v_and_or_b32 v9, v8, 7, v1
                                        ; implicit-def: $vgpr1
; %bb.639:                              ;   in Loop: Header=BB19_630 Depth=1
	s_andn2_saveexec_b64 s[0:1], s[0:1]
; %bb.640:                              ;   in Loop: Header=BB19_630 Depth=1
	v_mov_b32_e32 v9, v1
; %bb.641:                              ;   in Loop: Header=BB19_630 Depth=1
	s_or_b64 exec, exec, s[0:1]
.LBB19_642:                             ;   in Loop: Header=BB19_630 Depth=1
	s_or_b64 exec, exec, s[16:17]
.LBB19_643:                             ;   in Loop: Header=BB19_630 Depth=1
	s_andn2_saveexec_b64 s[0:1], s[14:15]
	s_or_b64 exec, exec, s[0:1]
                                        ; implicit-def: $vgpr8
.LBB19_644:                             ;   in Loop: Header=BB19_630 Depth=1
	s_andn2_saveexec_b64 s[0:1], s[12:13]
	s_cbranch_execz .LBB19_629
; %bb.645:                              ;   in Loop: Header=BB19_630 Depth=1
	v_or_b32_sdwa v1, v8, s23 dst_sel:DWORD dst_unused:UNUSED_PAD src0_sel:BYTE_3 src1_sel:DWORD
	v_cmp_eq_u64_e32 vcc, 0, v[2:3]
	v_cndmask_b32_e32 v9, v1, v9, vcc
	s_branch .LBB19_629
.LBB19_646:
                                        ; implicit-def: $sgpr10_sgpr11
	s_branch .LBB19_3
.LBB19_647:
	s_or_b64 exec, exec, s[2:3]
	s_sub_i32 s40, s42, s50
	s_ashr_i32 s0, s40, 31
	s_lshr_b32 s0, s0, 29
	s_add_i32 s0, s40, s0
	s_ashr_i32 s18, s0, 3
	s_ashr_i32 s51, s50, 31
	v_cmp_gt_i32_e32 vcc, s18, v0
	s_and_saveexec_b64 s[2:3], vcc
	s_cbranch_execz .LBB19_778
; %bb.648:
	s_add_u32 s0, s50, s94
	s_addc_u32 s1, s51, s87
	s_add_u32 s0, s0, s58
	s_addc_u32 s1, s1, s91
	s_add_u32 s0, s64, s0
	v_lshlrev_b32_e32 v1, 3, v0
	s_addc_u32 s1, s65, s1
	v_mov_b32_e32 v2, s1
	v_add_co_u32_e32 v6, vcc, s0, v1
	s_lshl_b32 s20, s86, 3
	s_lshl_b64 s[0:1], s[50:51], 1
	s_add_u32 s0, s60, s0
	s_addc_u32 s1, s61, s1
	s_add_u32 s0, s0, s36
	v_addc_co_u32_e32 v7, vcc, 0, v2, vcc
	v_lshlrev_b32_e32 v1, 4, v0
	s_addc_u32 s1, s1, s37
	s_mov_b32 s19, 0
	v_mov_b32_e32 v2, s1
	v_add_co_u32_e32 v8, vcc, s0, v1
	v_addc_co_u32_e32 v9, vcc, 0, v2, vcc
	s_lshl_b32 s21, s86, 4
	s_mov_b32 s22, s19
	s_mov_b64 s[4:5], 0
	v_mov_b32_e32 v11, 0
	s_movk_i32 s23, 0x80
	s_mov_b64 s[6:7], 0x7f800000
	s_mov_b64 s[8:9], 0x43e00001
	s_movk_i32 s24, 0x7a
	s_mov_b64 s[10:11], 0xffffff
	s_movk_i32 s25, 0x7f
	s_mov_b32 s26, 0xff00
	s_mov_b32 s27, 0x4020c0c
	v_mov_b32_e32 v1, 0xffffff82
	v_mov_b32_e32 v28, 0x78
	;; [unrolled: 1-line block ×3, first 2 shown]
	s_branch .LBB19_650
.LBB19_649:                             ;   in Loop: Header=BB19_650 Depth=1
	s_or_b64 exec, exec, s[0:1]
	v_lshlrev_b32_e32 v4, 16, v22
	v_lshlrev_b32_e32 v3, 24, v24
	v_and_b32_e32 v4, 0xff0000, v4
	v_or_b32_e32 v3, v3, v4
	v_lshlrev_b32_e32 v4, 8, v20
	v_and_b32_e32 v4, 0xff00, v4
	v_and_b32_e32 v5, 0xff, v18
	v_or3_b32 v3, v3, v4, v5
	v_lshlrev_b32_e32 v4, 16, v16
	v_lshlrev_b32_e32 v5, 8, v14
	v_perm_b32 v2, v2, v4, s27
	v_and_or_b32 v2, v5, s26, v2
	v_or_b32_sdwa v2, v2, v12 dst_sel:DWORD dst_unused:UNUSED_PAD src0_sel:DWORD src1_sel:BYTE_0
	global_store_dwordx2 v[6:7], v[2:3], off
	v_mov_b32_e32 v2, s19
	v_add_co_u32_e32 v6, vcc, s20, v6
	v_add_u32_e32 v29, s86, v29
	v_addc_co_u32_e32 v7, vcc, v7, v2, vcc
	v_cmp_le_i32_e32 vcc, s18, v29
	v_mov_b32_e32 v2, s22
	s_or_b64 s[4:5], vcc, s[4:5]
	v_add_co_u32_e32 v8, vcc, s21, v8
	v_addc_co_u32_e32 v9, vcc, v9, v2, vcc
	s_andn2_b64 exec, exec, s[4:5]
	s_cbranch_execz .LBB19_778
.LBB19_650:                             ; =>This Inner Loop Header: Depth=1
	global_load_dwordx4 v[2:5], v[8:9], off
	v_mov_b32_e32 v17, v11
	s_waitcnt vmcnt(0)
	v_lshlrev_b32_e32 v10, 16, v2
	v_div_scale_f32 v12, s[0:1], s95, s95, v10
	v_rcp_f32_e32 v13, v12
	v_div_scale_f32 v14, vcc, v10, s95, v10
	v_fma_f32 v15, -v12, v13, 1.0
	v_fmac_f32_e32 v13, v15, v13
	v_mul_f32_e32 v15, v14, v13
	v_fma_f32 v16, -v12, v15, v14
	v_fmac_f32_e32 v15, v16, v13
	v_fma_f32 v12, -v12, v15, v14
	v_div_fmas_f32 v12, v12, v13, v15
	v_div_fixup_f32 v15, v12, s95, v10
	v_and_b32_sdwa v14, v15, s23 dst_sel:DWORD dst_unused:UNUSED_PAD src0_sel:BYTE_3 src1_sel:DWORD
	v_and_b32_e32 v16, 0x7f800000, v15
	v_and_b32_e32 v10, 0x7fffff, v15
	v_or_b32_e32 v12, 0x7e, v14
	v_cmp_ne_u64_e32 vcc, s[6:7], v[16:17]
	s_and_saveexec_b64 s[0:1], vcc
	s_xor_b64 s[12:13], exec, s[0:1]
	s_cbranch_execz .LBB19_664
; %bb.651:                              ;   in Loop: Header=BB19_650 Depth=1
	v_and_b32_e32 v16, 0x7fffffff, v15
	v_mov_b32_e32 v17, v11
	v_cmp_gt_u64_e32 vcc, s[8:9], v[16:17]
	s_and_saveexec_b64 s[0:1], vcc
	s_xor_b64 s[14:15], exec, s[0:1]
	s_cbranch_execz .LBB19_663
; %bb.652:                              ;   in Loop: Header=BB19_650 Depth=1
	v_cmp_ne_u32_e32 vcc, 0, v15
	v_pk_mov_b32 v[12:13], 0, 0
	s_and_saveexec_b64 s[16:17], vcc
	s_cbranch_execz .LBB19_662
; %bb.653:                              ;   in Loop: Header=BB19_650 Depth=1
	v_bfe_u32 v12, v15, 23, 8
	v_sub_u32_e32 v15, 0x79, v12
	v_cmp_gt_u32_e32 vcc, s24, v12
	v_cndmask_b32_e32 v15, 0, v15, vcc
	v_cmp_eq_u32_e32 vcc, 0, v12
	v_cndmask_b32_e32 v15, v15, v28, vcc
	v_add_u32_e32 v13, 0xffffff81, v12
	v_or_b32_e32 v16, 0x800000, v10
	v_add_u32_e32 v12, 20, v15
	v_cndmask_b32_e32 v17, v13, v1, vcc
	v_cndmask_b32_e32 v10, v16, v10, vcc
	v_lshlrev_b64 v[12:13], v12, -1
	v_not_b32_e32 v12, v12
	v_lshrrev_b64 v[20:21], v15, v[10:11]
	v_not_b32_e32 v13, v13
	v_and_b32_e32 v12, v10, v12
	v_add_u32_e32 v16, 19, v15
	v_lshrrev_b32_e32 v10, 23, v20
	v_and_b32_e32 v13, 0, v13
	v_lshlrev_b64 v[18:19], v16, 1
	v_add3_u32 v16, v15, v17, v10
	v_bfe_u32 v10, v20, 20, 1
	v_add_u32_e32 v10, -1, v10
	v_cmp_eq_u64_e32 vcc, v[12:13], v[18:19]
	v_cndmask_b32_e32 v10, 0, v10, vcc
	v_add_u32_e32 v10, v10, v20
	v_and_b32_e32 v10, 0xfffff, v10
	v_add_co_u32_e32 v12, vcc, v10, v20
	v_add_u32_e32 v15, 6, v16
	v_addc_co_u32_e32 v13, vcc, 0, v21, vcc
	v_cmp_ne_u32_e32 vcc, 0, v15
                                        ; implicit-def: $vgpr10
	s_and_saveexec_b64 s[0:1], vcc
	s_xor_b64 s[0:1], exec, s[0:1]
; %bb.654:                              ;   in Loop: Header=BB19_650 Depth=1
	v_add_u32_e32 v10, 7, v16
	v_cmp_lt_u64_e32 vcc, s[10:11], v[12:13]
	v_cndmask_b32_e32 v10, v15, v10, vcc
	v_cndmask_b32_e64 v15, 0, 1, vcc
	v_lshrrev_b64 v[12:13], v15, v[12:13]
; %bb.655:                              ;   in Loop: Header=BB19_650 Depth=1
	s_andn2_saveexec_b64 s[0:1], s[0:1]
; %bb.656:                              ;   in Loop: Header=BB19_650 Depth=1
	v_bfe_u32 v10, v12, 23, 1
; %bb.657:                              ;   in Loop: Header=BB19_650 Depth=1
	s_or_b64 exec, exec, s[0:1]
	v_lshrrev_b64 v[12:13], 20, v[12:13]
	v_cmp_gt_i32_e32 vcc, 16, v10
	v_cndmask_b32_e32 v17, 0, v13, vcc
	v_cndmask_b32_e32 v16, 7, v12, vcc
	v_cmp_ne_u32_e32 vcc, 0, v10
	v_cmp_ne_u64_e64 s[0:1], 0, v[16:17]
	s_or_b64 s[0:1], vcc, s[0:1]
                                        ; implicit-def: $vgpr12_vgpr13
	s_and_saveexec_b64 s[28:29], s[0:1]
	s_xor_b64 s[0:1], exec, s[28:29]
; %bb.658:                              ;   in Loop: Header=BB19_650 Depth=1
	v_min_i32_e32 v10, 15, v10
	v_lshl_or_b32 v10, v10, 3, v14
	v_and_or_b32 v12, v16, 7, v10
                                        ; implicit-def: $vgpr14
; %bb.659:                              ;   in Loop: Header=BB19_650 Depth=1
	s_andn2_saveexec_b64 s[0:1], s[0:1]
; %bb.660:                              ;   in Loop: Header=BB19_650 Depth=1
	v_pk_mov_b32 v[12:13], v[14:15], v[14:15] op_sel:[0,1]
; %bb.661:                              ;   in Loop: Header=BB19_650 Depth=1
	s_or_b64 exec, exec, s[0:1]
.LBB19_662:                             ;   in Loop: Header=BB19_650 Depth=1
	s_or_b64 exec, exec, s[16:17]
.LBB19_663:                             ;   in Loop: Header=BB19_650 Depth=1
	s_andn2_saveexec_b64 s[0:1], s[14:15]
	s_or_b64 exec, exec, s[0:1]
                                        ; implicit-def: $vgpr15
.LBB19_664:                             ;   in Loop: Header=BB19_650 Depth=1
	s_andn2_saveexec_b64 s[0:1], s[12:13]
; %bb.665:                              ;   in Loop: Header=BB19_650 Depth=1
	v_or_b32_sdwa v13, v15, s25 dst_sel:DWORD dst_unused:UNUSED_PAD src0_sel:BYTE_3 src1_sel:DWORD
	v_cmp_eq_u64_e32 vcc, 0, v[10:11]
	v_cndmask_b32_e32 v12, v13, v12, vcc
; %bb.666:                              ;   in Loop: Header=BB19_650 Depth=1
	s_or_b64 exec, exec, s[0:1]
	v_and_b32_e32 v2, 0xffff0000, v2
	v_div_scale_f32 v10, s[0:1], s95, s95, v2
	v_rcp_f32_e32 v13, v10
	v_div_scale_f32 v14, vcc, v2, s95, v2
	v_mov_b32_e32 v17, v11
	v_fma_f32 v15, -v10, v13, 1.0
	v_fmac_f32_e32 v13, v15, v13
	v_mul_f32_e32 v15, v14, v13
	v_fma_f32 v16, -v10, v15, v14
	v_fmac_f32_e32 v15, v16, v13
	v_fma_f32 v10, -v10, v15, v14
	v_div_fmas_f32 v10, v10, v13, v15
	v_div_fixup_f32 v13, v10, s95, v2
	v_and_b32_sdwa v2, v13, s23 dst_sel:DWORD dst_unused:UNUSED_PAD src0_sel:BYTE_3 src1_sel:DWORD
	v_and_b32_e32 v16, 0x7f800000, v13
	v_and_b32_e32 v10, 0x7fffff, v13
	v_or_b32_e32 v14, 0x7e, v2
	v_cmp_ne_u64_e32 vcc, s[6:7], v[16:17]
	s_and_saveexec_b64 s[0:1], vcc
	s_xor_b64 s[12:13], exec, s[0:1]
	s_cbranch_execz .LBB19_680
; %bb.667:                              ;   in Loop: Header=BB19_650 Depth=1
	v_and_b32_e32 v16, 0x7fffffff, v13
	v_mov_b32_e32 v17, v11
	v_cmp_gt_u64_e32 vcc, s[8:9], v[16:17]
	s_and_saveexec_b64 s[0:1], vcc
	s_xor_b64 s[14:15], exec, s[0:1]
	s_cbranch_execz .LBB19_679
; %bb.668:                              ;   in Loop: Header=BB19_650 Depth=1
	v_cmp_ne_u32_e32 vcc, 0, v13
	v_pk_mov_b32 v[14:15], 0, 0
	s_and_saveexec_b64 s[16:17], vcc
	s_cbranch_execz .LBB19_678
; %bb.669:                              ;   in Loop: Header=BB19_650 Depth=1
	v_bfe_u32 v13, v13, 23, 8
	v_sub_u32_e32 v15, 0x79, v13
	v_cmp_gt_u32_e32 vcc, s24, v13
	v_cndmask_b32_e32 v15, 0, v15, vcc
	v_cmp_eq_u32_e32 vcc, 0, v13
	v_add_u32_e32 v14, 0xffffff81, v13
	v_cndmask_b32_e32 v17, v15, v28, vcc
	v_or_b32_e32 v16, 0x800000, v10
	v_cndmask_b32_e32 v13, v14, v1, vcc
	v_add_u32_e32 v14, 20, v17
	v_cndmask_b32_e32 v10, v16, v10, vcc
	v_lshlrev_b64 v[14:15], v14, -1
	v_not_b32_e32 v14, v14
	v_lshrrev_b64 v[20:21], v17, v[10:11]
	v_not_b32_e32 v15, v15
	v_and_b32_e32 v14, v10, v14
	v_add_u32_e32 v16, 19, v17
	v_lshrrev_b32_e32 v10, 23, v20
	v_and_b32_e32 v15, 0, v15
	v_lshlrev_b64 v[18:19], v16, 1
	v_add3_u32 v16, v17, v13, v10
	v_bfe_u32 v10, v20, 20, 1
	v_add_u32_e32 v10, -1, v10
	v_cmp_eq_u64_e32 vcc, v[14:15], v[18:19]
	v_cndmask_b32_e32 v10, 0, v10, vcc
	v_add_u32_e32 v10, v10, v20
	v_and_b32_e32 v10, 0xfffff, v10
	v_add_co_u32_e32 v14, vcc, v10, v20
	v_add_u32_e32 v13, 6, v16
	v_addc_co_u32_e32 v15, vcc, 0, v21, vcc
	v_cmp_ne_u32_e32 vcc, 0, v13
                                        ; implicit-def: $vgpr10
	s_and_saveexec_b64 s[0:1], vcc
	s_xor_b64 s[0:1], exec, s[0:1]
; %bb.670:                              ;   in Loop: Header=BB19_650 Depth=1
	v_add_u32_e32 v10, 7, v16
	v_cmp_lt_u64_e32 vcc, s[10:11], v[14:15]
	v_cndmask_b32_e32 v10, v13, v10, vcc
	v_cndmask_b32_e64 v13, 0, 1, vcc
	v_lshrrev_b64 v[14:15], v13, v[14:15]
; %bb.671:                              ;   in Loop: Header=BB19_650 Depth=1
	s_andn2_saveexec_b64 s[0:1], s[0:1]
; %bb.672:                              ;   in Loop: Header=BB19_650 Depth=1
	v_bfe_u32 v10, v14, 23, 1
; %bb.673:                              ;   in Loop: Header=BB19_650 Depth=1
	s_or_b64 exec, exec, s[0:1]
	v_lshrrev_b64 v[14:15], 20, v[14:15]
	v_cmp_gt_i32_e32 vcc, 16, v10
	v_cndmask_b32_e32 v17, 0, v15, vcc
	v_cndmask_b32_e32 v16, 7, v14, vcc
	v_cmp_ne_u32_e32 vcc, 0, v10
	v_cmp_ne_u64_e64 s[0:1], 0, v[16:17]
	s_or_b64 s[0:1], vcc, s[0:1]
                                        ; implicit-def: $vgpr14_vgpr15
	s_and_saveexec_b64 s[28:29], s[0:1]
	s_xor_b64 s[0:1], exec, s[28:29]
; %bb.674:                              ;   in Loop: Header=BB19_650 Depth=1
	v_min_i32_e32 v10, 15, v10
	v_lshl_or_b32 v2, v10, 3, v2
	v_and_or_b32 v14, v16, 7, v2
                                        ; implicit-def: $vgpr2
; %bb.675:                              ;   in Loop: Header=BB19_650 Depth=1
	s_andn2_saveexec_b64 s[0:1], s[0:1]
; %bb.676:                              ;   in Loop: Header=BB19_650 Depth=1
	v_pk_mov_b32 v[14:15], v[2:3], v[2:3] op_sel:[0,1]
; %bb.677:                              ;   in Loop: Header=BB19_650 Depth=1
	s_or_b64 exec, exec, s[0:1]
.LBB19_678:                             ;   in Loop: Header=BB19_650 Depth=1
	s_or_b64 exec, exec, s[16:17]
.LBB19_679:                             ;   in Loop: Header=BB19_650 Depth=1
	s_andn2_saveexec_b64 s[0:1], s[14:15]
	s_or_b64 exec, exec, s[0:1]
                                        ; implicit-def: $vgpr13
.LBB19_680:                             ;   in Loop: Header=BB19_650 Depth=1
	s_andn2_saveexec_b64 s[0:1], s[12:13]
; %bb.681:                              ;   in Loop: Header=BB19_650 Depth=1
	v_or_b32_sdwa v2, v13, s25 dst_sel:DWORD dst_unused:UNUSED_PAD src0_sel:BYTE_3 src1_sel:DWORD
	v_cmp_eq_u64_e32 vcc, 0, v[10:11]
	v_cndmask_b32_e32 v14, v2, v14, vcc
; %bb.682:                              ;   in Loop: Header=BB19_650 Depth=1
	s_or_b64 exec, exec, s[0:1]
	v_lshlrev_b32_e32 v2, 16, v3
	v_div_scale_f32 v10, s[0:1], s95, s95, v2
	v_rcp_f32_e32 v13, v10
	v_div_scale_f32 v15, vcc, v2, s95, v2
	v_mov_b32_e32 v19, v11
	v_fma_f32 v16, -v10, v13, 1.0
	v_fmac_f32_e32 v13, v16, v13
	v_mul_f32_e32 v16, v15, v13
	v_fma_f32 v17, -v10, v16, v15
	v_fmac_f32_e32 v16, v17, v13
	v_fma_f32 v10, -v10, v16, v15
	v_div_fmas_f32 v10, v10, v13, v16
	v_div_fixup_f32 v13, v10, s95, v2
	v_and_b32_sdwa v2, v13, s23 dst_sel:DWORD dst_unused:UNUSED_PAD src0_sel:BYTE_3 src1_sel:DWORD
	v_and_b32_e32 v18, 0x7f800000, v13
	v_and_b32_e32 v10, 0x7fffff, v13
	v_or_b32_e32 v16, 0x7e, v2
	v_cmp_ne_u64_e32 vcc, s[6:7], v[18:19]
	s_and_saveexec_b64 s[0:1], vcc
	s_xor_b64 s[12:13], exec, s[0:1]
	s_cbranch_execz .LBB19_696
; %bb.683:                              ;   in Loop: Header=BB19_650 Depth=1
	v_and_b32_e32 v18, 0x7fffffff, v13
	v_mov_b32_e32 v19, v11
	v_cmp_gt_u64_e32 vcc, s[8:9], v[18:19]
	s_and_saveexec_b64 s[0:1], vcc
	s_xor_b64 s[14:15], exec, s[0:1]
	s_cbranch_execz .LBB19_695
; %bb.684:                              ;   in Loop: Header=BB19_650 Depth=1
	v_cmp_ne_u32_e32 vcc, 0, v13
	v_pk_mov_b32 v[16:17], 0, 0
	s_and_saveexec_b64 s[16:17], vcc
	s_cbranch_execz .LBB19_694
; %bb.685:                              ;   in Loop: Header=BB19_650 Depth=1
	v_bfe_u32 v13, v13, 23, 8
	v_sub_u32_e32 v16, 0x79, v13
	v_cmp_gt_u32_e32 vcc, s24, v13
	v_add_u32_e32 v15, 0xffffff81, v13
	v_cndmask_b32_e32 v16, 0, v16, vcc
	v_cmp_eq_u32_e32 vcc, 0, v13
	v_cndmask_b32_e32 v13, v15, v1, vcc
	v_cndmask_b32_e32 v15, v16, v28, vcc
	v_or_b32_e32 v17, 0x800000, v10
	v_add_u32_e32 v16, 20, v15
	v_cndmask_b32_e32 v10, v17, v10, vcc
	v_lshlrev_b64 v[16:17], v16, -1
	v_not_b32_e32 v16, v16
	v_lshrrev_b64 v[20:21], v15, v[10:11]
	v_not_b32_e32 v17, v17
	v_and_b32_e32 v16, v10, v16
	v_add_u32_e32 v18, 19, v15
	v_lshrrev_b32_e32 v10, 23, v20
	v_and_b32_e32 v17, 0, v17
	v_lshlrev_b64 v[18:19], v18, 1
	v_add3_u32 v15, v15, v13, v10
	v_bfe_u32 v10, v20, 20, 1
	v_add_u32_e32 v10, -1, v10
	v_cmp_eq_u64_e32 vcc, v[16:17], v[18:19]
	v_cndmask_b32_e32 v10, 0, v10, vcc
	v_add_u32_e32 v10, v10, v20
	v_and_b32_e32 v10, 0xfffff, v10
	v_add_co_u32_e32 v16, vcc, v10, v20
	v_add_u32_e32 v13, 6, v15
	v_addc_co_u32_e32 v17, vcc, 0, v21, vcc
	v_cmp_ne_u32_e32 vcc, 0, v13
                                        ; implicit-def: $vgpr10
	s_and_saveexec_b64 s[0:1], vcc
	s_xor_b64 s[0:1], exec, s[0:1]
; %bb.686:                              ;   in Loop: Header=BB19_650 Depth=1
	v_add_u32_e32 v10, 7, v15
	v_cmp_lt_u64_e32 vcc, s[10:11], v[16:17]
	v_cndmask_b32_e32 v10, v13, v10, vcc
	v_cndmask_b32_e64 v13, 0, 1, vcc
	v_lshrrev_b64 v[16:17], v13, v[16:17]
; %bb.687:                              ;   in Loop: Header=BB19_650 Depth=1
	s_andn2_saveexec_b64 s[0:1], s[0:1]
; %bb.688:                              ;   in Loop: Header=BB19_650 Depth=1
	v_bfe_u32 v10, v16, 23, 1
; %bb.689:                              ;   in Loop: Header=BB19_650 Depth=1
	s_or_b64 exec, exec, s[0:1]
	v_lshrrev_b64 v[16:17], 20, v[16:17]
	v_cmp_gt_i32_e32 vcc, 16, v10
	v_cndmask_b32_e32 v19, 0, v17, vcc
	v_cndmask_b32_e32 v18, 7, v16, vcc
	v_cmp_ne_u32_e32 vcc, 0, v10
	v_cmp_ne_u64_e64 s[0:1], 0, v[18:19]
	s_or_b64 s[0:1], vcc, s[0:1]
                                        ; implicit-def: $vgpr16_vgpr17
	s_and_saveexec_b64 s[28:29], s[0:1]
	s_xor_b64 s[0:1], exec, s[28:29]
; %bb.690:                              ;   in Loop: Header=BB19_650 Depth=1
	v_min_i32_e32 v10, 15, v10
	v_lshl_or_b32 v2, v10, 3, v2
	v_and_or_b32 v16, v18, 7, v2
                                        ; implicit-def: $vgpr2
; %bb.691:                              ;   in Loop: Header=BB19_650 Depth=1
	s_andn2_saveexec_b64 s[0:1], s[0:1]
; %bb.692:                              ;   in Loop: Header=BB19_650 Depth=1
	v_pk_mov_b32 v[16:17], v[2:3], v[2:3] op_sel:[0,1]
; %bb.693:                              ;   in Loop: Header=BB19_650 Depth=1
	s_or_b64 exec, exec, s[0:1]
.LBB19_694:                             ;   in Loop: Header=BB19_650 Depth=1
	s_or_b64 exec, exec, s[16:17]
.LBB19_695:                             ;   in Loop: Header=BB19_650 Depth=1
	s_andn2_saveexec_b64 s[0:1], s[14:15]
	s_or_b64 exec, exec, s[0:1]
                                        ; implicit-def: $vgpr13
.LBB19_696:                             ;   in Loop: Header=BB19_650 Depth=1
	s_andn2_saveexec_b64 s[0:1], s[12:13]
; %bb.697:                              ;   in Loop: Header=BB19_650 Depth=1
	v_or_b32_sdwa v2, v13, s25 dst_sel:DWORD dst_unused:UNUSED_PAD src0_sel:BYTE_3 src1_sel:DWORD
	v_cmp_eq_u64_e32 vcc, 0, v[10:11]
	v_cndmask_b32_e32 v16, v2, v16, vcc
; %bb.698:                              ;   in Loop: Header=BB19_650 Depth=1
	s_or_b64 exec, exec, s[0:1]
	v_and_b32_e32 v2, 0xffff0000, v3
	v_div_scale_f32 v3, s[0:1], s95, s95, v2
	v_rcp_f32_e32 v10, v3
	v_div_scale_f32 v13, vcc, v2, s95, v2
	v_mov_b32_e32 v21, v11
	v_fma_f32 v15, -v3, v10, 1.0
	v_fmac_f32_e32 v10, v15, v10
	v_mul_f32_e32 v15, v13, v10
	v_fma_f32 v17, -v3, v15, v13
	v_fmac_f32_e32 v15, v17, v10
	v_fma_f32 v3, -v3, v15, v13
	v_div_fmas_f32 v3, v3, v10, v15
	v_div_fixup_f32 v13, v3, s95, v2
	v_and_b32_sdwa v18, v13, s23 dst_sel:DWORD dst_unused:UNUSED_PAD src0_sel:BYTE_3 src1_sel:DWORD
	v_and_b32_e32 v20, 0x7f800000, v13
	v_and_b32_e32 v10, 0x7fffff, v13
	v_or_b32_e32 v2, 0x7e, v18
	v_cmp_ne_u64_e32 vcc, s[6:7], v[20:21]
	s_and_saveexec_b64 s[0:1], vcc
	s_xor_b64 s[12:13], exec, s[0:1]
	s_cbranch_execz .LBB19_712
; %bb.699:                              ;   in Loop: Header=BB19_650 Depth=1
	v_and_b32_e32 v20, 0x7fffffff, v13
	v_mov_b32_e32 v21, v11
	v_cmp_gt_u64_e32 vcc, s[8:9], v[20:21]
	s_and_saveexec_b64 s[0:1], vcc
	s_xor_b64 s[14:15], exec, s[0:1]
	s_cbranch_execz .LBB19_711
; %bb.700:                              ;   in Loop: Header=BB19_650 Depth=1
	v_cmp_ne_u32_e32 vcc, 0, v13
	v_pk_mov_b32 v[2:3], 0, 0
	s_and_saveexec_b64 s[16:17], vcc
	s_cbranch_execz .LBB19_710
; %bb.701:                              ;   in Loop: Header=BB19_650 Depth=1
	v_bfe_u32 v2, v13, 23, 8
	v_sub_u32_e32 v13, 0x79, v2
	v_cmp_gt_u32_e32 vcc, s24, v2
	v_cndmask_b32_e32 v13, 0, v13, vcc
	v_cmp_eq_u32_e32 vcc, 0, v2
	v_cndmask_b32_e32 v13, v13, v28, vcc
	v_add_u32_e32 v3, 0xffffff81, v2
	v_or_b32_e32 v15, 0x800000, v10
	v_add_u32_e32 v2, 20, v13
	v_cndmask_b32_e32 v17, v3, v1, vcc
	v_cndmask_b32_e32 v10, v15, v10, vcc
	v_lshlrev_b64 v[2:3], v2, -1
	v_not_b32_e32 v2, v2
	v_lshrrev_b64 v[22:23], v13, v[10:11]
	v_not_b32_e32 v3, v3
	v_and_b32_e32 v2, v10, v2
	v_add_u32_e32 v15, 19, v13
	v_lshrrev_b32_e32 v10, 23, v22
	v_and_b32_e32 v3, 0, v3
	v_lshlrev_b64 v[20:21], v15, 1
	v_add3_u32 v15, v13, v17, v10
	v_bfe_u32 v10, v22, 20, 1
	v_add_u32_e32 v10, -1, v10
	v_cmp_eq_u64_e32 vcc, v[2:3], v[20:21]
	v_cndmask_b32_e32 v2, 0, v10, vcc
	v_add_u32_e32 v2, v2, v22
	v_and_b32_e32 v2, 0xfffff, v2
	v_add_co_u32_e32 v2, vcc, v2, v22
	v_add_u32_e32 v13, 6, v15
	v_addc_co_u32_e32 v3, vcc, 0, v23, vcc
	v_cmp_ne_u32_e32 vcc, 0, v13
                                        ; implicit-def: $vgpr10
	s_and_saveexec_b64 s[0:1], vcc
	s_xor_b64 s[0:1], exec, s[0:1]
; %bb.702:                              ;   in Loop: Header=BB19_650 Depth=1
	v_add_u32_e32 v10, 7, v15
	v_cmp_lt_u64_e32 vcc, s[10:11], v[2:3]
	v_cndmask_b32_e32 v10, v13, v10, vcc
	v_cndmask_b32_e64 v13, 0, 1, vcc
	v_lshrrev_b64 v[2:3], v13, v[2:3]
; %bb.703:                              ;   in Loop: Header=BB19_650 Depth=1
	s_andn2_saveexec_b64 s[0:1], s[0:1]
; %bb.704:                              ;   in Loop: Header=BB19_650 Depth=1
	v_bfe_u32 v10, v2, 23, 1
; %bb.705:                              ;   in Loop: Header=BB19_650 Depth=1
	s_or_b64 exec, exec, s[0:1]
	v_lshrrev_b64 v[2:3], 20, v[2:3]
	v_cmp_gt_i32_e32 vcc, 16, v10
	v_cndmask_b32_e32 v21, 0, v3, vcc
	v_cndmask_b32_e32 v20, 7, v2, vcc
	v_cmp_ne_u32_e32 vcc, 0, v10
	v_cmp_ne_u64_e64 s[0:1], 0, v[20:21]
	s_or_b64 s[0:1], vcc, s[0:1]
                                        ; implicit-def: $vgpr2_vgpr3
	s_and_saveexec_b64 s[28:29], s[0:1]
	s_xor_b64 s[0:1], exec, s[28:29]
; %bb.706:                              ;   in Loop: Header=BB19_650 Depth=1
	v_min_i32_e32 v2, 15, v10
	v_lshl_or_b32 v2, v2, 3, v18
	v_and_or_b32 v2, v20, 7, v2
                                        ; implicit-def: $vgpr18
; %bb.707:                              ;   in Loop: Header=BB19_650 Depth=1
	s_andn2_saveexec_b64 s[0:1], s[0:1]
; %bb.708:                              ;   in Loop: Header=BB19_650 Depth=1
	v_pk_mov_b32 v[2:3], v[18:19], v[18:19] op_sel:[0,1]
; %bb.709:                              ;   in Loop: Header=BB19_650 Depth=1
	s_or_b64 exec, exec, s[0:1]
.LBB19_710:                             ;   in Loop: Header=BB19_650 Depth=1
	s_or_b64 exec, exec, s[16:17]
.LBB19_711:                             ;   in Loop: Header=BB19_650 Depth=1
	s_andn2_saveexec_b64 s[0:1], s[14:15]
	s_or_b64 exec, exec, s[0:1]
                                        ; implicit-def: $vgpr13
.LBB19_712:                             ;   in Loop: Header=BB19_650 Depth=1
	s_andn2_saveexec_b64 s[0:1], s[12:13]
; %bb.713:                              ;   in Loop: Header=BB19_650 Depth=1
	v_or_b32_sdwa v3, v13, s25 dst_sel:DWORD dst_unused:UNUSED_PAD src0_sel:BYTE_3 src1_sel:DWORD
	v_cmp_eq_u64_e32 vcc, 0, v[10:11]
	v_cndmask_b32_e32 v2, v3, v2, vcc
; %bb.714:                              ;   in Loop: Header=BB19_650 Depth=1
	s_or_b64 exec, exec, s[0:1]
	v_lshlrev_b32_e32 v3, 16, v4
	v_div_scale_f32 v10, s[0:1], s95, s95, v3
	v_rcp_f32_e32 v13, v10
	v_div_scale_f32 v15, vcc, v3, s95, v3
	v_mov_b32_e32 v23, v11
	v_fma_f32 v17, -v10, v13, 1.0
	v_fmac_f32_e32 v13, v17, v13
	v_mul_f32_e32 v17, v15, v13
	v_fma_f32 v18, -v10, v17, v15
	v_fmac_f32_e32 v17, v18, v13
	v_fma_f32 v10, -v10, v17, v15
	v_div_fmas_f32 v10, v10, v13, v17
	v_div_fixup_f32 v3, v10, s95, v3
	v_and_b32_sdwa v20, v3, s23 dst_sel:DWORD dst_unused:UNUSED_PAD src0_sel:BYTE_3 src1_sel:DWORD
	v_and_b32_e32 v22, 0x7f800000, v3
	v_and_b32_e32 v10, 0x7fffff, v3
	v_or_b32_e32 v18, 0x7e, v20
	v_cmp_ne_u64_e32 vcc, s[6:7], v[22:23]
	s_and_saveexec_b64 s[0:1], vcc
	s_xor_b64 s[12:13], exec, s[0:1]
	s_cbranch_execz .LBB19_728
; %bb.715:                              ;   in Loop: Header=BB19_650 Depth=1
	v_and_b32_e32 v22, 0x7fffffff, v3
	v_mov_b32_e32 v23, v11
	v_cmp_gt_u64_e32 vcc, s[8:9], v[22:23]
	s_and_saveexec_b64 s[0:1], vcc
	s_xor_b64 s[14:15], exec, s[0:1]
	s_cbranch_execz .LBB19_727
; %bb.716:                              ;   in Loop: Header=BB19_650 Depth=1
	v_cmp_ne_u32_e32 vcc, 0, v3
	v_pk_mov_b32 v[18:19], 0, 0
	s_and_saveexec_b64 s[16:17], vcc
	s_cbranch_execz .LBB19_726
; %bb.717:                              ;   in Loop: Header=BB19_650 Depth=1
	v_bfe_u32 v3, v3, 23, 8
	v_sub_u32_e32 v15, 0x79, v3
	v_cmp_gt_u32_e32 vcc, s24, v3
	v_add_u32_e32 v13, 0xffffff81, v3
	v_cndmask_b32_e32 v15, 0, v15, vcc
	v_cmp_eq_u32_e32 vcc, 0, v3
	v_cndmask_b32_e32 v3, v13, v1, vcc
	v_cndmask_b32_e32 v13, v15, v28, vcc
	v_or_b32_e32 v17, 0x800000, v10
	v_add_u32_e32 v15, 20, v13
	v_cndmask_b32_e32 v10, v17, v10, vcc
	v_lshlrev_b64 v[18:19], v15, -1
	v_not_b32_e32 v15, v19
	v_not_b32_e32 v17, v18
	v_lshrrev_b64 v[24:25], v13, v[10:11]
	v_and_b32_e32 v19, 0, v15
	v_and_b32_e32 v18, v10, v17
	v_add_u32_e32 v15, 19, v13
	v_lshrrev_b32_e32 v10, 23, v24
	v_lshlrev_b64 v[22:23], v15, 1
	v_add3_u32 v13, v13, v3, v10
	v_bfe_u32 v3, v24, 20, 1
	v_add_u32_e32 v3, -1, v3
	v_cmp_eq_u64_e32 vcc, v[18:19], v[22:23]
	v_cndmask_b32_e32 v3, 0, v3, vcc
	v_add_u32_e32 v3, v3, v24
	v_and_b32_e32 v3, 0xfffff, v3
	v_add_co_u32_e32 v18, vcc, v3, v24
	v_add_u32_e32 v10, 6, v13
	v_addc_co_u32_e32 v19, vcc, 0, v25, vcc
	v_cmp_ne_u32_e32 vcc, 0, v10
                                        ; implicit-def: $vgpr3
	s_and_saveexec_b64 s[0:1], vcc
	s_xor_b64 s[0:1], exec, s[0:1]
; %bb.718:                              ;   in Loop: Header=BB19_650 Depth=1
	v_add_u32_e32 v3, 7, v13
	v_cmp_lt_u64_e32 vcc, s[10:11], v[18:19]
	v_cndmask_b32_e32 v3, v10, v3, vcc
	v_cndmask_b32_e64 v10, 0, 1, vcc
	v_lshrrev_b64 v[18:19], v10, v[18:19]
; %bb.719:                              ;   in Loop: Header=BB19_650 Depth=1
	s_andn2_saveexec_b64 s[0:1], s[0:1]
; %bb.720:                              ;   in Loop: Header=BB19_650 Depth=1
	v_bfe_u32 v3, v18, 23, 1
; %bb.721:                              ;   in Loop: Header=BB19_650 Depth=1
	s_or_b64 exec, exec, s[0:1]
	v_lshrrev_b64 v[18:19], 20, v[18:19]
	v_cmp_gt_i32_e32 vcc, 16, v3
	v_cndmask_b32_e32 v23, 0, v19, vcc
	v_cndmask_b32_e32 v22, 7, v18, vcc
	v_cmp_ne_u32_e32 vcc, 0, v3
	v_cmp_ne_u64_e64 s[0:1], 0, v[22:23]
	s_or_b64 s[0:1], vcc, s[0:1]
                                        ; implicit-def: $vgpr18_vgpr19
	s_and_saveexec_b64 s[28:29], s[0:1]
	s_xor_b64 s[0:1], exec, s[28:29]
; %bb.722:                              ;   in Loop: Header=BB19_650 Depth=1
	v_min_i32_e32 v3, 15, v3
	v_lshl_or_b32 v3, v3, 3, v20
	v_and_or_b32 v18, v22, 7, v3
                                        ; implicit-def: $vgpr20
; %bb.723:                              ;   in Loop: Header=BB19_650 Depth=1
	s_andn2_saveexec_b64 s[0:1], s[0:1]
; %bb.724:                              ;   in Loop: Header=BB19_650 Depth=1
	v_pk_mov_b32 v[18:19], v[20:21], v[20:21] op_sel:[0,1]
; %bb.725:                              ;   in Loop: Header=BB19_650 Depth=1
	s_or_b64 exec, exec, s[0:1]
.LBB19_726:                             ;   in Loop: Header=BB19_650 Depth=1
	s_or_b64 exec, exec, s[16:17]
.LBB19_727:                             ;   in Loop: Header=BB19_650 Depth=1
	s_andn2_saveexec_b64 s[0:1], s[14:15]
	s_or_b64 exec, exec, s[0:1]
                                        ; implicit-def: $vgpr3
.LBB19_728:                             ;   in Loop: Header=BB19_650 Depth=1
	s_andn2_saveexec_b64 s[0:1], s[12:13]
; %bb.729:                              ;   in Loop: Header=BB19_650 Depth=1
	v_or_b32_sdwa v3, v3, s25 dst_sel:DWORD dst_unused:UNUSED_PAD src0_sel:BYTE_3 src1_sel:DWORD
	v_cmp_eq_u64_e32 vcc, 0, v[10:11]
	v_cndmask_b32_e32 v18, v3, v18, vcc
; %bb.730:                              ;   in Loop: Header=BB19_650 Depth=1
	s_or_b64 exec, exec, s[0:1]
	v_and_b32_e32 v3, 0xffff0000, v4
	v_div_scale_f32 v4, s[0:1], s95, s95, v3
	v_rcp_f32_e32 v10, v4
	v_div_scale_f32 v13, vcc, v3, s95, v3
	v_mov_b32_e32 v23, v11
	v_fma_f32 v15, -v4, v10, 1.0
	v_fmac_f32_e32 v10, v15, v10
	v_mul_f32_e32 v15, v13, v10
	v_fma_f32 v17, -v4, v15, v13
	v_fmac_f32_e32 v15, v17, v10
	v_fma_f32 v4, -v4, v15, v13
	v_div_fmas_f32 v4, v4, v10, v15
	v_div_fixup_f32 v3, v4, s95, v3
	v_and_b32_sdwa v4, v3, s23 dst_sel:DWORD dst_unused:UNUSED_PAD src0_sel:BYTE_3 src1_sel:DWORD
	v_and_b32_e32 v22, 0x7f800000, v3
	v_and_b32_e32 v10, 0x7fffff, v3
	v_or_b32_e32 v20, 0x7e, v4
	v_cmp_ne_u64_e32 vcc, s[6:7], v[22:23]
	s_and_saveexec_b64 s[0:1], vcc
	s_xor_b64 s[12:13], exec, s[0:1]
	s_cbranch_execz .LBB19_744
; %bb.731:                              ;   in Loop: Header=BB19_650 Depth=1
	v_and_b32_e32 v22, 0x7fffffff, v3
	v_mov_b32_e32 v23, v11
	v_cmp_gt_u64_e32 vcc, s[8:9], v[22:23]
	s_and_saveexec_b64 s[0:1], vcc
	s_xor_b64 s[14:15], exec, s[0:1]
	s_cbranch_execz .LBB19_743
; %bb.732:                              ;   in Loop: Header=BB19_650 Depth=1
	v_cmp_ne_u32_e32 vcc, 0, v3
	v_pk_mov_b32 v[20:21], 0, 0
	s_and_saveexec_b64 s[16:17], vcc
	s_cbranch_execz .LBB19_742
; %bb.733:                              ;   in Loop: Header=BB19_650 Depth=1
	v_bfe_u32 v3, v3, 23, 8
	v_sub_u32_e32 v15, 0x79, v3
	v_cmp_gt_u32_e32 vcc, s24, v3
	v_add_u32_e32 v13, 0xffffff81, v3
	v_cndmask_b32_e32 v15, 0, v15, vcc
	v_cmp_eq_u32_e32 vcc, 0, v3
	v_cndmask_b32_e32 v3, v13, v1, vcc
	v_cndmask_b32_e32 v13, v15, v28, vcc
	v_or_b32_e32 v17, 0x800000, v10
	v_add_u32_e32 v15, 20, v13
	v_cndmask_b32_e32 v10, v17, v10, vcc
	v_lshlrev_b64 v[20:21], v15, -1
	v_not_b32_e32 v15, v21
	v_not_b32_e32 v17, v20
	v_lshrrev_b64 v[24:25], v13, v[10:11]
	v_and_b32_e32 v21, 0, v15
	v_and_b32_e32 v20, v10, v17
	v_add_u32_e32 v15, 19, v13
	v_lshrrev_b32_e32 v10, 23, v24
	v_lshlrev_b64 v[22:23], v15, 1
	v_add3_u32 v13, v13, v3, v10
	v_bfe_u32 v3, v24, 20, 1
	v_add_u32_e32 v3, -1, v3
	v_cmp_eq_u64_e32 vcc, v[20:21], v[22:23]
	v_cndmask_b32_e32 v3, 0, v3, vcc
	v_add_u32_e32 v3, v3, v24
	v_and_b32_e32 v3, 0xfffff, v3
	v_add_co_u32_e32 v20, vcc, v3, v24
	v_add_u32_e32 v10, 6, v13
	v_addc_co_u32_e32 v21, vcc, 0, v25, vcc
	v_cmp_ne_u32_e32 vcc, 0, v10
                                        ; implicit-def: $vgpr3
	s_and_saveexec_b64 s[0:1], vcc
	s_xor_b64 s[0:1], exec, s[0:1]
; %bb.734:                              ;   in Loop: Header=BB19_650 Depth=1
	v_add_u32_e32 v3, 7, v13
	v_cmp_lt_u64_e32 vcc, s[10:11], v[20:21]
	v_cndmask_b32_e32 v3, v10, v3, vcc
	v_cndmask_b32_e64 v10, 0, 1, vcc
	v_lshrrev_b64 v[20:21], v10, v[20:21]
; %bb.735:                              ;   in Loop: Header=BB19_650 Depth=1
	s_andn2_saveexec_b64 s[0:1], s[0:1]
; %bb.736:                              ;   in Loop: Header=BB19_650 Depth=1
	v_bfe_u32 v3, v20, 23, 1
; %bb.737:                              ;   in Loop: Header=BB19_650 Depth=1
	s_or_b64 exec, exec, s[0:1]
	v_lshrrev_b64 v[20:21], 20, v[20:21]
	v_cmp_gt_i32_e32 vcc, 16, v3
	v_cndmask_b32_e32 v23, 0, v21, vcc
	v_cndmask_b32_e32 v22, 7, v20, vcc
	v_cmp_ne_u32_e32 vcc, 0, v3
	v_cmp_ne_u64_e64 s[0:1], 0, v[22:23]
	s_or_b64 s[0:1], vcc, s[0:1]
                                        ; implicit-def: $vgpr20_vgpr21
	s_and_saveexec_b64 s[28:29], s[0:1]
	s_xor_b64 s[0:1], exec, s[28:29]
; %bb.738:                              ;   in Loop: Header=BB19_650 Depth=1
	v_min_i32_e32 v3, 15, v3
	v_lshl_or_b32 v3, v3, 3, v4
	v_and_or_b32 v20, v22, 7, v3
                                        ; implicit-def: $vgpr4
; %bb.739:                              ;   in Loop: Header=BB19_650 Depth=1
	s_andn2_saveexec_b64 s[0:1], s[0:1]
; %bb.740:                              ;   in Loop: Header=BB19_650 Depth=1
	v_pk_mov_b32 v[20:21], v[4:5], v[4:5] op_sel:[0,1]
; %bb.741:                              ;   in Loop: Header=BB19_650 Depth=1
	s_or_b64 exec, exec, s[0:1]
.LBB19_742:                             ;   in Loop: Header=BB19_650 Depth=1
	s_or_b64 exec, exec, s[16:17]
.LBB19_743:                             ;   in Loop: Header=BB19_650 Depth=1
	s_andn2_saveexec_b64 s[0:1], s[14:15]
	s_or_b64 exec, exec, s[0:1]
                                        ; implicit-def: $vgpr3
.LBB19_744:                             ;   in Loop: Header=BB19_650 Depth=1
	s_andn2_saveexec_b64 s[0:1], s[12:13]
; %bb.745:                              ;   in Loop: Header=BB19_650 Depth=1
	v_or_b32_sdwa v3, v3, s25 dst_sel:DWORD dst_unused:UNUSED_PAD src0_sel:BYTE_3 src1_sel:DWORD
	v_cmp_eq_u64_e32 vcc, 0, v[10:11]
	v_cndmask_b32_e32 v20, v3, v20, vcc
; %bb.746:                              ;   in Loop: Header=BB19_650 Depth=1
	s_or_b64 exec, exec, s[0:1]
	v_lshlrev_b32_e32 v3, 16, v5
	v_div_scale_f32 v4, s[0:1], s95, s95, v3
	v_rcp_f32_e32 v10, v4
	v_div_scale_f32 v13, vcc, v3, s95, v3
	v_mov_b32_e32 v25, v11
	v_fma_f32 v15, -v4, v10, 1.0
	v_fmac_f32_e32 v10, v15, v10
	v_mul_f32_e32 v15, v13, v10
	v_fma_f32 v17, -v4, v15, v13
	v_fmac_f32_e32 v15, v17, v10
	v_fma_f32 v4, -v4, v15, v13
	v_div_fmas_f32 v4, v4, v10, v15
	v_div_fixup_f32 v3, v4, s95, v3
	v_and_b32_sdwa v4, v3, s23 dst_sel:DWORD dst_unused:UNUSED_PAD src0_sel:BYTE_3 src1_sel:DWORD
	v_and_b32_e32 v24, 0x7f800000, v3
	v_and_b32_e32 v10, 0x7fffff, v3
	v_or_b32_e32 v22, 0x7e, v4
	v_cmp_ne_u64_e32 vcc, s[6:7], v[24:25]
	s_and_saveexec_b64 s[0:1], vcc
	s_xor_b64 s[12:13], exec, s[0:1]
	s_cbranch_execz .LBB19_760
; %bb.747:                              ;   in Loop: Header=BB19_650 Depth=1
	v_and_b32_e32 v24, 0x7fffffff, v3
	v_mov_b32_e32 v25, v11
	v_cmp_gt_u64_e32 vcc, s[8:9], v[24:25]
	s_and_saveexec_b64 s[0:1], vcc
	s_xor_b64 s[14:15], exec, s[0:1]
	s_cbranch_execz .LBB19_759
; %bb.748:                              ;   in Loop: Header=BB19_650 Depth=1
	v_cmp_ne_u32_e32 vcc, 0, v3
	v_pk_mov_b32 v[22:23], 0, 0
	s_and_saveexec_b64 s[16:17], vcc
	s_cbranch_execz .LBB19_758
; %bb.749:                              ;   in Loop: Header=BB19_650 Depth=1
	v_bfe_u32 v3, v3, 23, 8
	v_sub_u32_e32 v15, 0x79, v3
	v_cmp_gt_u32_e32 vcc, s24, v3
	v_add_u32_e32 v13, 0xffffff81, v3
	v_cndmask_b32_e32 v15, 0, v15, vcc
	v_cmp_eq_u32_e32 vcc, 0, v3
	v_cndmask_b32_e32 v3, v13, v1, vcc
	v_cndmask_b32_e32 v13, v15, v28, vcc
	v_or_b32_e32 v17, 0x800000, v10
	v_add_u32_e32 v15, 20, v13
	v_cndmask_b32_e32 v10, v17, v10, vcc
	v_lshlrev_b64 v[22:23], v15, -1
	v_not_b32_e32 v15, v23
	v_not_b32_e32 v17, v22
	v_lshrrev_b64 v[26:27], v13, v[10:11]
	v_and_b32_e32 v23, 0, v15
	v_and_b32_e32 v22, v10, v17
	v_add_u32_e32 v15, 19, v13
	v_lshrrev_b32_e32 v10, 23, v26
	v_lshlrev_b64 v[24:25], v15, 1
	v_add3_u32 v13, v13, v3, v10
	v_bfe_u32 v3, v26, 20, 1
	v_add_u32_e32 v3, -1, v3
	v_cmp_eq_u64_e32 vcc, v[22:23], v[24:25]
	v_cndmask_b32_e32 v3, 0, v3, vcc
	v_add_u32_e32 v3, v3, v26
	v_and_b32_e32 v3, 0xfffff, v3
	v_add_co_u32_e32 v22, vcc, v3, v26
	v_add_u32_e32 v10, 6, v13
	v_addc_co_u32_e32 v23, vcc, 0, v27, vcc
	v_cmp_ne_u32_e32 vcc, 0, v10
                                        ; implicit-def: $vgpr3
	s_and_saveexec_b64 s[0:1], vcc
	s_xor_b64 s[0:1], exec, s[0:1]
; %bb.750:                              ;   in Loop: Header=BB19_650 Depth=1
	v_add_u32_e32 v3, 7, v13
	v_cmp_lt_u64_e32 vcc, s[10:11], v[22:23]
	v_cndmask_b32_e32 v3, v10, v3, vcc
	v_cndmask_b32_e64 v10, 0, 1, vcc
	v_lshrrev_b64 v[22:23], v10, v[22:23]
; %bb.751:                              ;   in Loop: Header=BB19_650 Depth=1
	s_andn2_saveexec_b64 s[0:1], s[0:1]
; %bb.752:                              ;   in Loop: Header=BB19_650 Depth=1
	v_bfe_u32 v3, v22, 23, 1
; %bb.753:                              ;   in Loop: Header=BB19_650 Depth=1
	s_or_b64 exec, exec, s[0:1]
	v_lshrrev_b64 v[22:23], 20, v[22:23]
	v_cmp_gt_i32_e32 vcc, 16, v3
	v_cndmask_b32_e32 v25, 0, v23, vcc
	v_cndmask_b32_e32 v24, 7, v22, vcc
	v_cmp_ne_u32_e32 vcc, 0, v3
	v_cmp_ne_u64_e64 s[0:1], 0, v[24:25]
	s_or_b64 s[0:1], vcc, s[0:1]
                                        ; implicit-def: $vgpr22_vgpr23
	s_and_saveexec_b64 s[28:29], s[0:1]
	s_xor_b64 s[0:1], exec, s[28:29]
; %bb.754:                              ;   in Loop: Header=BB19_650 Depth=1
	v_min_i32_e32 v3, 15, v3
	v_lshl_or_b32 v3, v3, 3, v4
	v_and_or_b32 v22, v24, 7, v3
                                        ; implicit-def: $vgpr4
; %bb.755:                              ;   in Loop: Header=BB19_650 Depth=1
	s_andn2_saveexec_b64 s[0:1], s[0:1]
; %bb.756:                              ;   in Loop: Header=BB19_650 Depth=1
	v_pk_mov_b32 v[22:23], v[4:5], v[4:5] op_sel:[0,1]
; %bb.757:                              ;   in Loop: Header=BB19_650 Depth=1
	s_or_b64 exec, exec, s[0:1]
.LBB19_758:                             ;   in Loop: Header=BB19_650 Depth=1
	s_or_b64 exec, exec, s[16:17]
.LBB19_759:                             ;   in Loop: Header=BB19_650 Depth=1
	s_andn2_saveexec_b64 s[0:1], s[14:15]
	s_or_b64 exec, exec, s[0:1]
                                        ; implicit-def: $vgpr3
.LBB19_760:                             ;   in Loop: Header=BB19_650 Depth=1
	s_andn2_saveexec_b64 s[0:1], s[12:13]
; %bb.761:                              ;   in Loop: Header=BB19_650 Depth=1
	v_or_b32_sdwa v3, v3, s25 dst_sel:DWORD dst_unused:UNUSED_PAD src0_sel:BYTE_3 src1_sel:DWORD
	v_cmp_eq_u64_e32 vcc, 0, v[10:11]
	v_cndmask_b32_e32 v22, v3, v22, vcc
; %bb.762:                              ;   in Loop: Header=BB19_650 Depth=1
	s_or_b64 exec, exec, s[0:1]
	v_and_b32_e32 v3, 0xffff0000, v5
	v_div_scale_f32 v4, s[0:1], s95, s95, v3
	v_rcp_f32_e32 v5, v4
	v_div_scale_f32 v10, vcc, v3, s95, v3
	v_mov_b32_e32 v27, v11
	v_fma_f32 v13, -v4, v5, 1.0
	v_fmac_f32_e32 v5, v13, v5
	v_mul_f32_e32 v13, v10, v5
	v_fma_f32 v15, -v4, v13, v10
	v_fmac_f32_e32 v13, v15, v5
	v_fma_f32 v4, -v4, v13, v10
	v_div_fmas_f32 v4, v4, v5, v13
	v_div_fixup_f32 v3, v4, s95, v3
	v_and_b32_sdwa v4, v3, s23 dst_sel:DWORD dst_unused:UNUSED_PAD src0_sel:BYTE_3 src1_sel:DWORD
	v_and_b32_e32 v26, 0x7f800000, v3
	v_and_b32_e32 v10, 0x7fffff, v3
	v_or_b32_e32 v24, 0x7e, v4
	v_cmp_ne_u64_e32 vcc, s[6:7], v[26:27]
	s_and_saveexec_b64 s[0:1], vcc
	s_xor_b64 s[12:13], exec, s[0:1]
	s_cbranch_execz .LBB19_776
; %bb.763:                              ;   in Loop: Header=BB19_650 Depth=1
	v_and_b32_e32 v26, 0x7fffffff, v3
	v_mov_b32_e32 v27, v11
	v_cmp_gt_u64_e32 vcc, s[8:9], v[26:27]
	s_and_saveexec_b64 s[0:1], vcc
	s_xor_b64 s[14:15], exec, s[0:1]
	s_cbranch_execz .LBB19_775
; %bb.764:                              ;   in Loop: Header=BB19_650 Depth=1
	v_cmp_ne_u32_e32 vcc, 0, v3
	v_pk_mov_b32 v[24:25], 0, 0
	s_and_saveexec_b64 s[16:17], vcc
	s_cbranch_execz .LBB19_774
; %bb.765:                              ;   in Loop: Header=BB19_650 Depth=1
	v_bfe_u32 v3, v3, 23, 8
	v_sub_u32_e32 v13, 0x79, v3
	v_cmp_gt_u32_e32 vcc, s24, v3
	v_add_u32_e32 v5, 0xffffff81, v3
	v_cndmask_b32_e32 v13, 0, v13, vcc
	v_cmp_eq_u32_e32 vcc, 0, v3
	v_cndmask_b32_e32 v3, v5, v1, vcc
	v_cndmask_b32_e32 v5, v13, v28, vcc
	v_or_b32_e32 v15, 0x800000, v10
	v_add_u32_e32 v13, 20, v5
	v_cndmask_b32_e32 v10, v15, v10, vcc
	v_lshlrev_b64 v[24:25], v13, -1
	v_not_b32_e32 v13, v25
	v_not_b32_e32 v15, v24
	v_lshrrev_b64 v[30:31], v5, v[10:11]
	v_and_b32_e32 v25, 0, v13
	v_and_b32_e32 v24, v10, v15
	v_add_u32_e32 v13, 19, v5
	v_lshrrev_b32_e32 v10, 23, v30
	v_lshlrev_b64 v[26:27], v13, 1
	v_add3_u32 v10, v5, v3, v10
	v_bfe_u32 v3, v30, 20, 1
	v_add_u32_e32 v3, -1, v3
	v_cmp_eq_u64_e32 vcc, v[24:25], v[26:27]
	v_cndmask_b32_e32 v3, 0, v3, vcc
	v_add_u32_e32 v3, v3, v30
	v_and_b32_e32 v3, 0xfffff, v3
	v_add_co_u32_e32 v24, vcc, v3, v30
	v_add_u32_e32 v5, 6, v10
	v_addc_co_u32_e32 v25, vcc, 0, v31, vcc
	v_cmp_ne_u32_e32 vcc, 0, v5
                                        ; implicit-def: $vgpr3
	s_and_saveexec_b64 s[0:1], vcc
	s_xor_b64 s[0:1], exec, s[0:1]
; %bb.766:                              ;   in Loop: Header=BB19_650 Depth=1
	v_add_u32_e32 v3, 7, v10
	v_cmp_lt_u64_e32 vcc, s[10:11], v[24:25]
	v_cndmask_b32_e32 v3, v5, v3, vcc
	v_cndmask_b32_e64 v5, 0, 1, vcc
	v_lshrrev_b64 v[24:25], v5, v[24:25]
; %bb.767:                              ;   in Loop: Header=BB19_650 Depth=1
	s_andn2_saveexec_b64 s[0:1], s[0:1]
; %bb.768:                              ;   in Loop: Header=BB19_650 Depth=1
	v_bfe_u32 v3, v24, 23, 1
; %bb.769:                              ;   in Loop: Header=BB19_650 Depth=1
	s_or_b64 exec, exec, s[0:1]
	v_lshrrev_b64 v[24:25], 20, v[24:25]
	v_cmp_gt_i32_e32 vcc, 16, v3
	v_cndmask_b32_e32 v27, 0, v25, vcc
	v_cndmask_b32_e32 v26, 7, v24, vcc
	v_cmp_ne_u32_e32 vcc, 0, v3
	v_cmp_ne_u64_e64 s[0:1], 0, v[26:27]
	s_or_b64 s[0:1], vcc, s[0:1]
                                        ; implicit-def: $vgpr24_vgpr25
	s_and_saveexec_b64 s[28:29], s[0:1]
	s_xor_b64 s[0:1], exec, s[28:29]
; %bb.770:                              ;   in Loop: Header=BB19_650 Depth=1
	v_min_i32_e32 v3, 15, v3
	v_lshl_or_b32 v3, v3, 3, v4
	v_and_or_b32 v24, v26, 7, v3
                                        ; implicit-def: $vgpr4
; %bb.771:                              ;   in Loop: Header=BB19_650 Depth=1
	s_andn2_saveexec_b64 s[0:1], s[0:1]
; %bb.772:                              ;   in Loop: Header=BB19_650 Depth=1
	v_pk_mov_b32 v[24:25], v[4:5], v[4:5] op_sel:[0,1]
; %bb.773:                              ;   in Loop: Header=BB19_650 Depth=1
	s_or_b64 exec, exec, s[0:1]
.LBB19_774:                             ;   in Loop: Header=BB19_650 Depth=1
	s_or_b64 exec, exec, s[16:17]
.LBB19_775:                             ;   in Loop: Header=BB19_650 Depth=1
	s_andn2_saveexec_b64 s[0:1], s[14:15]
	s_or_b64 exec, exec, s[0:1]
                                        ; implicit-def: $vgpr3
.LBB19_776:                             ;   in Loop: Header=BB19_650 Depth=1
	s_andn2_saveexec_b64 s[0:1], s[12:13]
	s_cbranch_execz .LBB19_649
; %bb.777:                              ;   in Loop: Header=BB19_650 Depth=1
	v_or_b32_sdwa v3, v3, s25 dst_sel:DWORD dst_unused:UNUSED_PAD src0_sel:BYTE_3 src1_sel:DWORD
	v_cmp_eq_u64_e32 vcc, 0, v[10:11]
	v_cndmask_b32_e32 v24, v3, v24, vcc
	s_branch .LBB19_649
.LBB19_778:
	s_or_b64 exec, exec, s[2:3]
	v_lshl_add_u32 v2, s18, 3, v0
	v_cmp_gt_i32_e32 vcc, s40, v2
	s_and_saveexec_b64 s[52:53], vcc
	s_cbranch_execz .LBB19_802
; %bb.779:
	v_cvt_f32_u32_e32 v1, s86
	v_add_u32_e32 v3, s86, v2
	v_mov_b32_e32 v4, s86
	s_sub_i32 s2, 0, s86
	v_rcp_iflag_f32_e32 v1, v1
	v_cmp_gt_i32_e32 vcc, s40, v3
	v_max_i32_e32 v5, s40, v3
	v_addc_co_u32_e64 v3, s[0:1], v2, v4, vcc
	v_mul_f32_e32 v1, 0x4f7ffffe, v1
	v_cvt_u32_f32_e32 v1, v1
	v_sub_u32_e32 v3, v5, v3
	s_cmp_eq_u32 s86, 1
	v_mul_lo_u32 v4, s2, v1
	v_mul_hi_u32 v4, v1, v4
	v_add_u32_e32 v1, v1, v4
	v_mul_hi_u32 v1, v3, v1
	v_mul_lo_u32 v4, v1, s86
	v_sub_u32_e32 v3, v3, v4
	v_add_u32_e32 v5, 1, v1
	v_cmp_le_u32_e64 s[0:1], s86, v3
	v_subrev_u32_e32 v4, s86, v3
	v_cndmask_b32_e64 v1, v1, v5, s[0:1]
	v_cndmask_b32_e64 v3, v3, v4, s[0:1]
	v_add_u32_e32 v4, 1, v1
	v_cmp_le_u32_e64 s[0:1], s86, v3
	v_cndmask_b32_e64 v1, v1, v4, s[0:1]
	v_addc_co_u32_e32 v1, vcc, 1, v1, vcc
	v_cmp_lt_u32_e32 vcc, 3, v1
	s_cselect_b64 s[0:1], -1, 0
	s_and_b64 s[2:3], vcc, s[0:1]
	s_mov_b64 s[0:1], -1
	s_and_saveexec_b64 s[56:57], s[2:3]
	s_cbranch_execz .LBB19_783
; %bb.780:
	v_writelane_b32 v99, s38, 3
	v_writelane_b32 v99, s39, 4
	;; [unrolled: 1-line block ×10, first 2 shown]
	s_lshl_b64 s[0:1], s[50:51], 1
	s_add_u32 s41, s80, s0
	v_readlane_b32 s0, v99, 0
	s_addc_u32 s0, s0, s1
	s_add_u32 s43, s43, s50
	s_addc_u32 s1, s55, s51
	v_and_b32_e32 v3, -4, v1
	s_mov_b64 s[48:49], s[36:37]
	s_mov_b32 s44, s95
	s_mov_b32 s45, s95
	;; [unrolled: 1-line block ×3, first 2 shown]
	s_mov_b64 s[60:61], 0
	v_mov_b32_e32 v16, s1
	v_mov_b32_e32 v17, s0
	s_movk_i32 s47, 0x80
	s_mov_b64 s[62:63], 0x7f800000
	s_mov_b64 s[64:65], 0x43e00000
	;; [unrolled: 1-line block ×3, first 2 shown]
	s_movk_i32 s54, 0x7a
	v_mov_b32_e32 v18, 0xffffff82
	v_mov_b32_e32 v19, 0x78
	s_mov_b64 s[68:69], 0xffffff
	s_movk_i32 s55, 0x7f
	v_mov_b32_e32 v5, 0
	v_mov_b32_e32 v6, v2
	;; [unrolled: 1-line block ×3, first 2 shown]
.LBB19_781:                             ; =>This Inner Loop Header: Depth=1
	v_ashrrev_i32_e32 v7, 31, v6
	v_lshlrev_b64 v[8:9], 1, v[6:7]
	v_add_co_u32_e32 v8, vcc, s41, v8
	v_addc_co_u32_e32 v9, vcc, v17, v9, vcc
	global_load_dwordx2 v[22:23], v[8:9], off
	v_add_co_u32_e32 v8, vcc, s43, v6
	v_addc_co_u32_e32 v9, vcc, v16, v7, vcc
	v_mov_b32_e32 v37, v5
	v_mov_b32_e32 v33, v5
	;; [unrolled: 1-line block ×7, first 2 shown]
	v_add_u32_e32 v20, -4, v20
	v_add_u32_e32 v6, 4, v6
	s_waitcnt vmcnt(0)
	v_and_b32_e32 v12, 0xffff0000, v22
	v_lshlrev_b32_e32 v7, 16, v22
	v_div_scale_f32 v14, s[0:1], s44, s44, v12
	v_and_b32_e32 v10, 0xffff0000, v23
	v_div_scale_f32 v22, s[0:1], s95, s95, v7
	v_rcp_f32_e32 v29, v14
	v_lshlrev_b32_e32 v4, 16, v23
	v_div_scale_f32 v24, s[2:3], s46, s46, v10
	v_rcp_f32_e32 v30, v22
	v_div_scale_f32 v27, s[4:5], s45, s45, v4
	v_rcp_f32_e32 v31, v24
	v_rcp_f32_e32 v32, v27
	v_fma_f32 v34, -v14, v29, 1.0
	v_div_scale_f32 v21, vcc, v12, s44, v12
	v_fma_f32 v36, -v22, v30, 1.0
	v_fmac_f32_e32 v29, v34, v29
	v_div_scale_f32 v23, s[0:1], v7, s95, v7
	v_fma_f32 v38, -v24, v31, 1.0
	v_fmac_f32_e32 v30, v36, v30
	v_mul_f32_e32 v34, v21, v29
	v_div_scale_f32 v26, s[2:3], v10, s46, v10
	v_fma_f32 v39, -v27, v32, 1.0
	v_fmac_f32_e32 v31, v38, v31
	v_mul_f32_e32 v36, v23, v30
	v_fma_f32 v40, -v14, v34, v21
	v_div_scale_f32 v28, s[4:5], v4, s45, v4
	v_fmac_f32_e32 v32, v39, v32
	v_mul_f32_e32 v38, v26, v31
	v_fma_f32 v41, -v22, v36, v23
	v_fmac_f32_e32 v34, v40, v29
	v_mul_f32_e32 v39, v28, v32
	v_fma_f32 v42, -v24, v38, v26
	v_fmac_f32_e32 v36, v41, v30
	v_fma_f32 v14, -v14, v34, v21
	v_fma_f32 v43, -v27, v39, v28
	v_fmac_f32_e32 v38, v42, v31
	v_fma_f32 v22, -v22, v36, v23
	v_div_fmas_f32 v14, v14, v29, v34
	s_mov_b64 vcc, s[0:1]
	v_fmac_f32_e32 v39, v43, v32
	v_fma_f32 v23, -v24, v38, v26
	v_div_fixup_f32 v21, v14, s44, v12
	v_div_fmas_f32 v12, v22, v30, v36
	s_mov_b64 vcc, s[2:3]
	v_fma_f32 v26, -v27, v39, v28
	v_div_fixup_f32 v22, v12, s95, v7
	v_div_fmas_f32 v12, v23, v31, v38
	s_mov_b64 vcc, s[4:5]
	v_div_fixup_f32 v28, v12, s46, v10
	v_div_fmas_f32 v10, v26, v32, v39
	v_and_b32_e32 v36, 0x7f800000, v22
	v_div_fixup_f32 v31, v10, s45, v4
	v_cmp_ne_u64_e64 s[0:1], s[62:63], v[36:37]
	v_and_b32_e32 v32, 0x7f800000, v31
	v_and_b32_e32 v36, 0x7fffffff, v31
	v_cmp_ne_u64_e64 s[10:11], s[62:63], v[32:33]
	v_cmp_gt_u64_e64 s[12:13], s[66:67], v[36:37]
	v_and_b32_e32 v38, 0x7fffffff, v21
	v_bfe_u32 v43, v31, 23, 8
	v_mov_b32_e32 v39, v5
	s_and_b64 s[74:75], s[10:11], s[12:13]
	v_cmp_ne_u32_e64 s[22:23], 0, v31
	v_bfe_u32 v42, v28, 23, 8
	v_cmp_lt_u64_e64 s[20:21], s[64:65], v[38:39]
	v_cmp_gt_u64_e64 s[2:3], s[66:67], v[38:39]
	s_and_b64 s[70:71], s[74:75], s[22:23]
	v_sub_u32_e32 v39, 0x79, v43
	v_cmp_gt_u32_e64 s[22:23], s54, v43
	v_bfe_u32 v41, v22, 23, 8
	v_and_b32_e32 v34, 0x7f800000, v28
	v_sub_u32_e32 v38, 0x79, v42
	v_cndmask_b32_e64 v39, 0, v39, s[22:23]
	v_cmp_gt_u32_e64 s[22:23], s54, v42
	v_bfe_u32 v40, v21, 23, 8
	v_and_b32_e32 v24, 0x7f800000, v21
	v_cmp_ne_u64_e64 s[6:7], s[62:63], v[34:35]
	v_and_b32_e32 v34, 0x7fffffff, v28
	v_cmp_lt_u64_e64 s[14:15], s[64:65], v[36:37]
	v_sub_u32_e32 v37, 0x79, v41
	v_cndmask_b32_e64 v38, 0, v38, s[22:23]
	v_cmp_gt_u32_e64 s[22:23], s54, v41
	v_cmp_ne_u64_e32 vcc, s[62:63], v[24:25]
	v_and_b32_e32 v32, 0x7fffffff, v22
	v_cmp_gt_u64_e64 s[8:9], s[66:67], v[34:35]
	v_sub_u32_e32 v36, 0x79, v40
	v_cndmask_b32_e64 v37, 0, v37, s[22:23]
	v_cmp_gt_u32_e64 s[22:23], s54, v40
	v_and_b32_e32 v10, 0x7fffff, v28
	v_cmp_gt_u64_e64 s[4:5], s[66:67], v[32:33]
	s_and_b64 s[80:81], s[6:7], s[8:9]
	s_and_b64 s[84:85], vcc, s[2:3]
	v_cmp_ne_u32_e64 s[24:25], 0, v28
	v_cmp_ne_u32_e64 s[28:29], 0, v21
	v_cndmask_b32_e64 v36, 0, v36, s[22:23]
	v_cmp_eq_u32_e64 s[22:23], 0, v43
	v_and_b32_e32 v4, 0x7fffff, v31
	v_cmp_lt_u64_e64 s[16:17], s[64:65], v[34:35]
	s_and_b64 s[82:83], s[0:1], s[4:5]
	v_cmp_ne_u32_e64 s[26:27], 0, v22
	s_and_b64 s[78:79], s[84:85], s[28:29]
	s_and_b64 s[72:73], s[80:81], s[24:25]
	v_add_u32_e32 v34, 0xffffff81, v42
	v_or_b32_e32 v46, 0x800000, v10
	v_cmp_eq_u32_e64 s[24:25], 0, v42
	v_cmp_eq_u32_e64 s[28:29], 0, v40
	v_cndmask_b32_e64 v63, v39, v19, s[22:23]
	v_cmp_lt_u64_e64 s[18:19], s[64:65], v[32:33]
	s_and_b64 s[76:77], s[82:83], s[26:27]
	v_add_u32_e32 v32, 0xffffff81, v40
	v_or_b32_e32 v47, 0x800000, v4
	v_cndmask_b32_e64 v57, v34, v18, s[24:25]
	v_cmp_eq_u32_e64 s[26:27], 0, v41
	v_cndmask_b32_e64 v60, v36, v19, s[28:29]
	v_cndmask_b32_e64 v34, v46, v10, s[24:25]
	v_add_u32_e32 v46, 20, v63
	v_and_b32_e32 v14, 0x7fffff, v21
	v_add_u32_e32 v33, 0xffffff81, v41
	v_cndmask_b32_e64 v59, v32, v18, s[28:29]
	v_cndmask_b32_e64 v61, v37, v19, s[26:27]
	;; [unrolled: 1-line block ×3, first 2 shown]
	v_add_u32_e32 v40, 20, v60
	v_lshlrev_b64 v[46:47], v46, -1
	v_and_b32_e32 v12, 0x7fffff, v22
	v_or_b32_e32 v44, 0x800000, v14
	v_cndmask_b32_e64 v58, v33, v18, s[26:27]
	v_cndmask_b32_e64 v62, v38, v19, s[24:25]
	v_mov_b32_e32 v33, v5
	v_add_u32_e32 v42, 20, v61
	v_lshlrev_b64 v[40:41], v40, -1
	v_not_b32_e32 v46, v46
	v_add_u32_e32 v35, 0xffffff81, v43
	v_or_b32_e32 v45, 0x800000, v12
	v_cndmask_b32_e64 v38, v44, v14, s[28:29]
	v_mov_b32_e32 v39, v5
	v_add_u32_e32 v44, 20, v62
	v_lshlrev_b64 v[42:43], v42, -1
	v_not_b32_e32 v40, v40
	v_and_b32_e32 v46, v32, v46
	v_lshrrev_b64 v[32:33], v63, v[32:33]
	v_cndmask_b32_e64 v56, v35, v18, s[22:23]
	v_cndmask_b32_e64 v36, v45, v12, s[26:27]
	v_mov_b32_e32 v37, v5
	v_lshlrev_b64 v[44:45], v44, -1
	v_not_b32_e32 v42, v42
	v_and_b32_e32 v40, v38, v40
	v_add_u32_e32 v48, 19, v60
	v_lshrrev_b64 v[38:39], v60, v[38:39]
	v_lshrrev_b32_e32 v65, 23, v32
	v_mov_b32_e32 v35, v5
	v_not_b32_e32 v44, v44
	v_mov_b32_e32 v41, v5
	v_and_b32_e32 v42, v36, v42
	v_add_u32_e32 v50, 19, v61
	v_lshlrev_b64 v[48:49], v48, 1
	v_lshrrev_b64 v[36:37], v61, v[36:37]
	v_lshrrev_b32_e32 v66, 23, v38
	v_add3_u32 v56, v63, v56, v65
	v_bfe_u32 v65, v38, 20, 1
	v_mov_b32_e32 v43, v5
	v_and_b32_e32 v44, v34, v44
	v_add_u32_e32 v52, 19, v62
	v_lshlrev_b64 v[50:51], v50, 1
	v_bfe_u32 v53, v36, 20, 1
	v_lshrrev_b64 v[34:35], v62, v[34:35]
	v_add3_u32 v59, v60, v59, v66
	v_lshrrev_b32_e32 v66, 23, v36
	v_add_u32_e32 v65, -1, v65
	v_cmp_eq_u64_e64 s[22:23], v[40:41], v[48:49]
	v_mov_b32_e32 v45, v5
	v_add_u32_e32 v54, 19, v63
	v_add_u32_e32 v64, -1, v53
	v_lshlrev_b64 v[52:53], v52, 1
	v_add3_u32 v58, v61, v58, v66
	v_bfe_u32 v66, v34, 20, 1
	v_cndmask_b32_e64 v40, 0, v65, s[22:23]
	v_cmp_eq_u64_e64 s[22:23], v[42:43], v[50:51]
	v_mov_b32_e32 v47, v5
	v_lshlrev_b64 v[54:55], v54, 1
	v_bfe_u32 v67, v32, 20, 1
	v_add_u32_e32 v66, -1, v66
	v_cndmask_b32_e64 v41, 0, v64, s[22:23]
	v_cmp_eq_u64_e64 s[22:23], v[44:45], v[52:53]
	v_add_u32_e32 v67, -1, v67
	v_cndmask_b32_e64 v42, 0, v66, s[22:23]
	v_cmp_eq_u64_e64 s[22:23], v[46:47], v[54:55]
	v_cndmask_b32_e64 v43, 0, v67, s[22:23]
	v_add_u32_e32 v43, v43, v32
	v_and_b32_e32 v43, 0xfffff, v43
	v_add_u32_e32 v42, v42, v34
	v_add_co_u32_e64 v32, s[22:23], v43, v32
	v_and_b32_e32 v42, 0xfffff, v42
	v_addc_co_u32_e64 v33, s[22:23], 0, v33, s[22:23]
	v_lshrrev_b32_e32 v60, 23, v34
	v_add_u32_e32 v41, v41, v36
	v_add_co_u32_e64 v34, s[22:23], v42, v34
	v_and_b32_e32 v41, 0xfffff, v41
	v_addc_co_u32_e64 v35, s[22:23], 0, v35, s[22:23]
	v_add_u32_e32 v40, v40, v38
	v_add_co_u32_e64 v36, s[22:23], v41, v36
	v_and_b32_e32 v40, 0xfffff, v40
	v_addc_co_u32_e64 v37, s[22:23], 0, v37, s[22:23]
	v_add_co_u32_e64 v38, s[22:23], v40, v38
	v_add_u32_e32 v63, 6, v59
	v_addc_co_u32_e64 v39, s[22:23], 0, v39, s[22:23]
	v_add3_u32 v57, v62, v57, v60
	v_add_u32_e32 v60, 6, v56
	v_add_u32_e32 v62, 6, v58
	v_cmp_ne_u32_e64 s[22:23], 0, v63
	v_add_u32_e32 v40, 7, v59
	v_cmp_lt_u64_e64 s[38:39], s[68:69], v[38:39]
	v_add_u32_e32 v61, 6, v57
	v_cmp_ne_u32_e64 s[24:25], 0, v62
	v_cmp_ne_u32_e64 s[28:29], 0, v60
	v_add_u32_e32 v43, 7, v56
	v_cmp_lt_u64_e64 s[30:31], s[68:69], v[32:33]
	v_cndmask_b32_e64 v40, v63, v40, s[38:39]
	v_bfe_u32 v47, v38, 23, 1
	s_and_b64 s[22:23], s[78:79], s[22:23]
	v_cmp_ne_u32_e64 s[26:27], 0, v61
	v_add_u32_e32 v42, 7, v57
	v_cndmask_b32_e64 v43, v60, v43, s[30:31]
	v_cmp_lt_u64_e64 s[34:35], s[68:69], v[34:35]
	v_cmp_lt_u64_e64 s[36:37], s[68:69], v[36:37]
	v_bfe_u32 v44, v32, 23, 1
	v_cndmask_b32_e64 v40, v47, v40, s[22:23]
	s_and_b64 s[24:25], s[76:77], s[24:25]
	s_and_b64 s[28:29], s[70:71], s[28:29]
	;; [unrolled: 1-line block ×3, first 2 shown]
	v_add_u32_e32 v41, 7, v58
	v_cndmask_b32_e64 v42, v61, v42, s[34:35]
	v_bfe_u32 v45, v34, 23, 1
	s_and_b64 s[26:27], s[72:73], s[26:27]
	v_cndmask_b32_e64 v43, v44, v43, s[28:29]
	v_cndmask_b32_e64 v44, 0, 1, s[22:23]
	s_and_b64 s[22:23], s[24:25], s[36:37]
	v_cndmask_b32_e64 v41, v62, v41, s[36:37]
	v_bfe_u32 v46, v36, 23, 1
	v_cndmask_b32_e64 v42, v45, v42, s[26:27]
	v_cndmask_b32_e64 v45, 0, 1, s[22:23]
	s_and_b64 s[22:23], s[26:27], s[34:35]
	v_cndmask_b32_e64 v41, v46, v41, s[24:25]
	v_cndmask_b32_e64 v46, 0, 1, s[22:23]
	s_and_b64 s[22:23], s[28:29], s[30:31]
	v_and_b32_sdwa v7, v21, s47 dst_sel:DWORD dst_unused:UNUSED_PAD src0_sel:BYTE_3 src1_sel:DWORD
	v_cndmask_b32_e64 v47, 0, 1, s[22:23]
	s_and_b64 s[20:21], vcc, s[20:21]
	v_cmp_eq_u64_e32 vcc, 0, v[14:15]
	v_and_b32_sdwa v23, v22, s47 dst_sel:DWORD dst_unused:UNUSED_PAD src0_sel:BYTE_3 src1_sel:DWORD
	v_or_b32_e32 v26, 0x7e, v7
	v_cmp_eq_u32_e64 s[12:13], 0, v21
	v_lshrrev_b64 v[32:33], v47, v[32:33]
	s_and_b64 s[18:19], s[0:1], s[18:19]
	v_or_b32_sdwa v21, v21, s55 dst_sel:DWORD dst_unused:UNUSED_PAD src0_sel:BYTE_3 src1_sel:DWORD
	v_cmp_eq_u64_e64 s[0:1], 0, v[12:13]
	s_or_b64 vcc, s[20:21], vcc
	v_and_b32_sdwa v24, v28, s47 dst_sel:DWORD dst_unused:UNUSED_PAD src0_sel:BYTE_3 src1_sel:DWORD
	v_or_b32_e32 v27, 0x7e, v23
	v_cmp_eq_u32_e64 s[8:9], 0, v22
	v_lshrrev_b64 v[34:35], v46, v[34:35]
	v_lshrrev_b64 v[32:33], 20, v[32:33]
	v_cmp_gt_i32_e64 s[22:23], 16, v43
	s_and_b64 s[16:17], s[6:7], s[16:17]
	s_and_b64 s[14:15], s[10:11], s[14:15]
	v_or_b32_sdwa v22, v22, s55 dst_sel:DWORD dst_unused:UNUSED_PAD src0_sel:BYTE_3 src1_sel:DWORD
	v_cmp_eq_u64_e64 s[6:7], 0, v[10:11]
	v_cmp_eq_u64_e64 s[10:11], 0, v[4:5]
	v_cndmask_b32_e32 v4, v21, v26, vcc
	s_or_b64 vcc, s[18:19], s[0:1]
	s_and_b64 s[0:1], s[84:85], s[12:13]
	v_and_b32_sdwa v25, v31, s47 dst_sel:DWORD dst_unused:UNUSED_PAD src0_sel:BYTE_3 src1_sel:DWORD
	v_or_b32_e32 v29, 0x7e, v24
	v_cmp_eq_u32_e64 s[4:5], 0, v28
	v_lshrrev_b64 v[36:37], v45, v[36:37]
	v_lshrrev_b64 v[34:35], 20, v[34:35]
	v_cndmask_b32_e64 v33, 0, v33, s[22:23]
	v_cndmask_b32_e64 v32, 7, v32, s[22:23]
	v_cmp_gt_i32_e64 s[22:23], 16, v42
	v_or_b32_sdwa v28, v28, s55 dst_sel:DWORD dst_unused:UNUSED_PAD src0_sel:BYTE_3 src1_sel:DWORD
	v_cndmask_b32_e32 v10, v22, v27, vcc
	s_or_b64 vcc, s[16:17], s[6:7]
	v_cndmask_b32_e64 v4, v4, 0, s[0:1]
	s_and_b64 s[0:1], s[82:83], s[8:9]
	v_or_b32_e32 v30, 0x7e, v25
	v_cmp_eq_u32_e64 s[2:3], 0, v31
	v_lshrrev_b64 v[38:39], v44, v[38:39]
	v_lshrrev_b64 v[36:37], 20, v[36:37]
	v_cndmask_b32_e64 v35, 0, v35, s[22:23]
	v_cndmask_b32_e64 v34, 7, v34, s[22:23]
	v_cmp_gt_i32_e64 s[22:23], 16, v41
	v_cmp_eq_u32_e64 s[28:29], 0, v43
	v_cmp_eq_u64_e64 s[38:39], 0, v[32:33]
	v_or_b32_sdwa v31, v31, s55 dst_sel:DWORD dst_unused:UNUSED_PAD src0_sel:BYTE_3 src1_sel:DWORD
	v_cndmask_b32_e32 v11, v28, v29, vcc
	s_or_b64 vcc, s[14:15], s[10:11]
	v_cndmask_b32_e64 v10, v10, 0, s[0:1]
	s_and_b64 s[0:1], s[80:81], s[4:5]
	v_lshrrev_b64 v[38:39], 20, v[38:39]
	v_cndmask_b32_e64 v37, 0, v37, s[22:23]
	v_cndmask_b32_e64 v36, 7, v36, s[22:23]
	v_cmp_gt_i32_e64 s[22:23], 16, v40
	v_cmp_eq_u32_e64 s[26:27], 0, v42
	v_cmp_eq_u64_e64 s[36:37], 0, v[34:35]
	s_and_b64 s[28:29], s[28:29], s[38:39]
	v_cndmask_b32_e32 v12, v31, v30, vcc
	v_cndmask_b32_e64 v11, v11, 0, s[0:1]
	s_and_b64 s[0:1], s[74:75], s[2:3]
	v_cndmask_b32_e64 v39, 0, v39, s[22:23]
	v_cndmask_b32_e64 v38, 7, v38, s[22:23]
	v_cmp_eq_u32_e64 s[24:25], 0, v41
	v_cmp_eq_u64_e64 s[34:35], 0, v[36:37]
	s_and_b64 s[26:27], s[26:27], s[36:37]
	v_cndmask_b32_e64 v12, v12, 0, s[0:1]
	s_and_b64 vcc, s[70:71], s[28:29]
	v_cmp_eq_u32_e64 s[22:23], 0, v40
	v_cmp_eq_u64_e64 s[30:31], 0, v[38:39]
	s_and_b64 s[24:25], s[24:25], s[34:35]
	v_cndmask_b32_e32 v12, v12, v25, vcc
	s_and_b64 vcc, s[72:73], s[26:27]
	s_and_b64 s[22:23], s[22:23], s[30:31]
	v_min_i32_e32 v33, 15, v40
	v_cndmask_b32_e32 v11, v11, v24, vcc
	s_and_b64 vcc, s[76:77], s[24:25]
	s_xor_b64 s[30:31], s[22:23], -1
	v_min_i32_e32 v35, 15, v41
	v_lshl_or_b32 v33, v33, 3, v7
	v_cndmask_b32_e32 v10, v10, v23, vcc
	s_and_b64 vcc, s[78:79], s[22:23]
	s_xor_b64 s[34:35], s[24:25], -1
	v_min_i32_e32 v37, 15, v42
	v_lshl_or_b32 v35, v35, 3, v23
	v_and_or_b32 v33, v38, 7, v33
	v_cndmask_b32_e32 v4, v4, v7, vcc
	s_and_b64 vcc, s[78:79], s[30:31]
	s_xor_b64 s[36:37], s[26:27], -1
	v_min_i32_e32 v39, 15, v43
	v_lshl_or_b32 v37, v37, 3, v24
	v_and_or_b32 v35, v36, 7, v35
	v_cndmask_b32_e32 v4, v4, v33, vcc
	s_and_b64 vcc, s[76:77], s[34:35]
	s_xor_b64 s[38:39], s[28:29], -1
	v_lshl_or_b32 v39, v39, 3, v25
	v_and_or_b32 v34, v34, 7, v37
	v_lshlrev_b16_e32 v4, 8, v4
	v_cndmask_b32_e32 v7, v10, v35, vcc
	s_and_b64 vcc, s[72:73], s[36:37]
	v_and_or_b32 v32, v32, 7, v39
	v_or_b32_sdwa v4, v7, v4 dst_sel:DWORD dst_unused:UNUSED_PAD src0_sel:BYTE_0 src1_sel:DWORD
	v_cndmask_b32_e32 v7, v11, v34, vcc
	s_and_b64 vcc, s[70:71], s[38:39]
	v_lshlrev_b16_e32 v7, 8, v7
	v_cndmask_b32_e32 v10, v12, v32, vcc
	v_or_b32_sdwa v7, v10, v7 dst_sel:WORD_1 dst_unused:UNUSED_PAD src0_sel:BYTE_0 src1_sel:DWORD
	v_cmp_eq_u32_e32 vcc, 0, v20
	v_or_b32_sdwa v4, v4, v7 dst_sel:DWORD dst_unused:UNUSED_PAD src0_sel:WORD_0 src1_sel:DWORD
	s_or_b64 s[60:61], vcc, s[60:61]
	global_store_dword v[8:9], v4, off
	s_andn2_b64 exec, exec, s[60:61]
	s_cbranch_execnz .LBB19_781
; %bb.782:
	s_or_b64 exec, exec, s[60:61]
	v_cmp_ne_u32_e32 vcc, v1, v3
	v_readlane_b32 s60, v99, 5
	v_readlane_b32 s38, v99, 3
	v_add_u32_e32 v2, v2, v3
	s_orn2_b64 s[0:1], vcc, exec
	v_readlane_b32 s61, v99, 6
	v_readlane_b32 s62, v99, 7
	v_readlane_b32 s63, v99, 8
	v_readlane_b32 s64, v99, 9
	v_readlane_b32 s65, v99, 10
	v_readlane_b32 s66, v99, 11
	v_readlane_b32 s67, v99, 12
	v_readlane_b32 s34, v99, 1
	v_readlane_b32 s35, v99, 2
	s_mov_b64 s[36:37], s[48:49]
	v_readlane_b32 s39, v99, 4
.LBB19_783:
	s_or_b64 exec, exec, s[56:57]
	s_and_b64 exec, exec, s[0:1]
	s_cbranch_execz .LBB19_802
; %bb.784:
	s_lshl_b64 s[0:1], s[50:51], 1
	s_add_u32 s0, s36, s0
	s_addc_u32 s1, s37, s1
	v_ashrrev_i32_e32 v3, 31, v2
	s_add_u32 s0, s60, s0
	v_lshlrev_b64 v[6:7], 1, v[2:3]
	s_addc_u32 s1, s61, s1
	s_lshl_b32 s19, s86, 1
	v_add_co_u32_e32 v6, vcc, s0, v6
	s_add_u32 s0, s50, s94
	v_mov_b32_e32 v1, s1
	s_addc_u32 s1, s51, s87
	s_add_u32 s0, s0, s58
	s_addc_u32 s1, s1, s91
	s_add_u32 s0, s64, s0
	v_addc_co_u32_e32 v7, vcc, v1, v7, vcc
	s_addc_u32 s1, s65, s1
	v_mov_b32_e32 v4, s1
	v_add_co_u32_e32 v1, vcc, s0, v2
	s_mov_b32 s18, 0
	v_mov_b32_e32 v5, 0
	v_addc_co_u32_e32 v3, vcc, v4, v3, vcc
	s_mov_b64 s[2:3], 0
	s_movk_i32 s20, 0x80
	s_mov_b64 s[4:5], 0x7f800000
	s_mov_b64 s[6:7], 0x43e00001
	s_movk_i32 s21, 0x7a
	s_mov_b64 s[8:9], 0xffffff
	s_movk_i32 s22, 0x7f
	v_mov_b32_e32 v10, 0xffffff82
	v_mov_b32_e32 v11, 0x78
	s_mov_b64 s[10:11], 0
	s_branch .LBB19_786
.LBB19_785:                             ;   in Loop: Header=BB19_786 Depth=1
	s_or_b64 exec, exec, s[0:1]
	v_mov_b32_e32 v4, s11
	v_add_co_u32_e32 v12, vcc, s10, v1
	s_add_u32 s10, s10, s86
	v_addc_co_u32_e32 v13, vcc, v3, v4, vcc
	v_add_u32_e32 v4, s10, v2
	s_addc_u32 s11, s11, 0
	v_cmp_le_i32_e32 vcc, s40, v4
	v_mov_b32_e32 v8, s18
	s_or_b64 s[2:3], vcc, s[2:3]
	v_add_co_u32_e32 v6, vcc, s19, v6
	v_addc_co_u32_e32 v7, vcc, v7, v8, vcc
	global_store_byte v[12:13], v9, off
	s_andn2_b64 exec, exec, s[2:3]
	s_cbranch_execz .LBB19_802
.LBB19_786:                             ; =>This Inner Loop Header: Depth=1
	global_load_ushort v4, v[6:7], off
	v_mov_b32_e32 v15, v5
	s_waitcnt vmcnt(0)
	v_lshlrev_b32_e32 v4, 16, v4
	v_div_scale_f32 v8, s[0:1], s95, s95, v4
	v_rcp_f32_e32 v9, v8
	v_div_scale_f32 v12, vcc, v4, s95, v4
	v_fma_f32 v13, -v8, v9, 1.0
	v_fmac_f32_e32 v9, v13, v9
	v_mul_f32_e32 v13, v12, v9
	v_fma_f32 v14, -v8, v13, v12
	v_fmac_f32_e32 v13, v14, v9
	v_fma_f32 v8, -v8, v13, v12
	v_div_fmas_f32 v8, v8, v9, v13
	v_div_fixup_f32 v8, v8, s95, v4
	v_and_b32_sdwa v12, v8, s20 dst_sel:DWORD dst_unused:UNUSED_PAD src0_sel:BYTE_3 src1_sel:DWORD
	v_and_b32_e32 v14, 0x7f800000, v8
	v_and_b32_e32 v4, 0x7fffff, v8
	v_or_b32_e32 v9, 0x7e, v12
	v_cmp_ne_u64_e32 vcc, s[4:5], v[14:15]
	s_and_saveexec_b64 s[0:1], vcc
	s_xor_b64 s[12:13], exec, s[0:1]
	s_cbranch_execz .LBB19_800
; %bb.787:                              ;   in Loop: Header=BB19_786 Depth=1
	v_and_b32_e32 v14, 0x7fffffff, v8
	v_mov_b32_e32 v15, v5
	v_cmp_gt_u64_e32 vcc, s[6:7], v[14:15]
	s_and_saveexec_b64 s[0:1], vcc
	s_xor_b64 s[14:15], exec, s[0:1]
	s_cbranch_execz .LBB19_799
; %bb.788:                              ;   in Loop: Header=BB19_786 Depth=1
	v_cmp_ne_u32_e32 vcc, 0, v8
	v_mov_b32_e32 v9, 0
	s_and_saveexec_b64 s[16:17], vcc
	s_cbranch_execz .LBB19_798
; %bb.789:                              ;   in Loop: Header=BB19_786 Depth=1
	v_bfe_u32 v8, v8, 23, 8
	v_sub_u32_e32 v13, 0x79, v8
	v_cmp_gt_u32_e32 vcc, s21, v8
	v_cndmask_b32_e32 v13, 0, v13, vcc
	v_cmp_eq_u32_e32 vcc, 0, v8
	v_cndmask_b32_e32 v13, v13, v11, vcc
	v_add_u32_e32 v9, 0xffffff81, v8
	v_or_b32_e32 v14, 0x800000, v4
	v_add_u32_e32 v8, 20, v13
	v_cndmask_b32_e32 v15, v9, v10, vcc
	v_cndmask_b32_e32 v4, v14, v4, vcc
	v_lshlrev_b64 v[8:9], v8, -1
	v_not_b32_e32 v8, v8
	v_lshrrev_b64 v[18:19], v13, v[4:5]
	v_not_b32_e32 v9, v9
	v_and_b32_e32 v8, v4, v8
	v_add_u32_e32 v14, 19, v13
	v_lshrrev_b32_e32 v4, 23, v18
	v_and_b32_e32 v9, 0, v9
	v_lshlrev_b64 v[16:17], v14, 1
	v_add3_u32 v14, v13, v15, v4
	v_bfe_u32 v4, v18, 20, 1
	v_add_u32_e32 v4, -1, v4
	v_cmp_eq_u64_e32 vcc, v[8:9], v[16:17]
	v_cndmask_b32_e32 v4, 0, v4, vcc
	v_add_u32_e32 v4, v4, v18
	v_and_b32_e32 v4, 0xfffff, v4
	v_add_co_u32_e32 v8, vcc, v4, v18
	v_add_u32_e32 v13, 6, v14
	v_addc_co_u32_e32 v9, vcc, 0, v19, vcc
	v_cmp_ne_u32_e32 vcc, 0, v13
                                        ; implicit-def: $vgpr4
	s_and_saveexec_b64 s[0:1], vcc
	s_xor_b64 s[0:1], exec, s[0:1]
; %bb.790:                              ;   in Loop: Header=BB19_786 Depth=1
	v_add_u32_e32 v4, 7, v14
	v_cmp_lt_u64_e32 vcc, s[8:9], v[8:9]
	v_cndmask_b32_e32 v4, v13, v4, vcc
	v_cndmask_b32_e64 v13, 0, 1, vcc
	v_lshrrev_b64 v[8:9], v13, v[8:9]
; %bb.791:                              ;   in Loop: Header=BB19_786 Depth=1
	s_andn2_saveexec_b64 s[0:1], s[0:1]
; %bb.792:                              ;   in Loop: Header=BB19_786 Depth=1
	v_bfe_u32 v4, v8, 23, 1
; %bb.793:                              ;   in Loop: Header=BB19_786 Depth=1
	s_or_b64 exec, exec, s[0:1]
	v_lshrrev_b64 v[8:9], 20, v[8:9]
	v_cmp_gt_i32_e32 vcc, 16, v4
	v_cndmask_b32_e32 v9, 0, v9, vcc
	v_cndmask_b32_e32 v8, 7, v8, vcc
	v_cmp_ne_u32_e32 vcc, 0, v4
	v_cmp_ne_u64_e64 s[0:1], 0, v[8:9]
	s_or_b64 s[0:1], vcc, s[0:1]
                                        ; implicit-def: $vgpr9
	s_and_saveexec_b64 s[24:25], s[0:1]
	s_xor_b64 s[0:1], exec, s[24:25]
; %bb.794:                              ;   in Loop: Header=BB19_786 Depth=1
	v_min_i32_e32 v4, 15, v4
	v_lshl_or_b32 v4, v4, 3, v12
	v_and_or_b32 v9, v8, 7, v4
                                        ; implicit-def: $vgpr12
; %bb.795:                              ;   in Loop: Header=BB19_786 Depth=1
	s_andn2_saveexec_b64 s[0:1], s[0:1]
; %bb.796:                              ;   in Loop: Header=BB19_786 Depth=1
	v_mov_b32_e32 v9, v12
; %bb.797:                              ;   in Loop: Header=BB19_786 Depth=1
	s_or_b64 exec, exec, s[0:1]
.LBB19_798:                             ;   in Loop: Header=BB19_786 Depth=1
	s_or_b64 exec, exec, s[16:17]
.LBB19_799:                             ;   in Loop: Header=BB19_786 Depth=1
	s_andn2_saveexec_b64 s[0:1], s[14:15]
	s_or_b64 exec, exec, s[0:1]
                                        ; implicit-def: $vgpr8
.LBB19_800:                             ;   in Loop: Header=BB19_786 Depth=1
	s_andn2_saveexec_b64 s[0:1], s[12:13]
	s_cbranch_execz .LBB19_785
; %bb.801:                              ;   in Loop: Header=BB19_786 Depth=1
	v_or_b32_sdwa v8, v8, s22 dst_sel:DWORD dst_unused:UNUSED_PAD src0_sel:BYTE_3 src1_sel:DWORD
	v_cmp_eq_u64_e32 vcc, 0, v[4:5]
	v_cndmask_b32_e32 v9, v8, v9, vcc
	s_branch .LBB19_785
.LBB19_802:
	s_or_b64 exec, exec, s[52:53]
	s_mov_b64 s[0:1], 0
.LBB19_803:
	s_and_b64 vcc, exec, s[0:1]
	s_cbranch_vccz .LBB19_936
; %bb.804:
	s_ashr_i32 s18, s42, 3
	v_cmp_gt_i32_e32 vcc, s18, v0
	s_and_saveexec_b64 s[2:3], vcc
	s_cbranch_execz .LBB19_935
; %bb.805:
	s_add_u32 s0, s94, s58
	s_addc_u32 s1, s87, s91
	s_add_u32 s0, s64, s0
	v_lshlrev_b32_e32 v1, 3, v0
	s_addc_u32 s1, s65, s1
	s_lshl_b32 s20, s86, 3
	v_mov_b32_e32 v2, s1
	v_add_co_u32_e32 v6, vcc, s0, v1
	s_add_u32 s0, s60, s36
	v_addc_co_u32_e32 v7, vcc, 0, v2, vcc
	v_lshlrev_b32_e32 v1, 4, v0
	s_addc_u32 s1, s61, s37
	s_mov_b32 s19, 0
	v_mov_b32_e32 v2, s1
	v_add_co_u32_e32 v8, vcc, s0, v1
	v_addc_co_u32_e32 v9, vcc, 0, v2, vcc
	s_lshl_b32 s21, s86, 4
	s_mov_b32 s22, s19
	s_mov_b64 s[4:5], 0
	v_mov_b32_e32 v11, 0
	s_movk_i32 s23, 0x80
	s_mov_b64 s[6:7], 0x7f800000
	s_mov_b64 s[8:9], 0x43e00001
	s_movk_i32 s24, 0x7a
	s_mov_b64 s[10:11], 0xffffff
	s_movk_i32 s25, 0x7f
	s_mov_b32 s26, 0xff00
	s_mov_b32 s27, 0x4020c0c
	v_mov_b32_e32 v1, 0xffffff82
	v_mov_b32_e32 v28, 0x78
	;; [unrolled: 1-line block ×3, first 2 shown]
	s_branch .LBB19_807
.LBB19_806:                             ;   in Loop: Header=BB19_807 Depth=1
	s_or_b64 exec, exec, s[0:1]
	v_lshlrev_b32_e32 v4, 16, v22
	v_lshlrev_b32_e32 v3, 24, v24
	v_and_b32_e32 v4, 0xff0000, v4
	v_or_b32_e32 v3, v3, v4
	v_lshlrev_b32_e32 v4, 8, v20
	v_and_b32_e32 v4, 0xff00, v4
	v_and_b32_e32 v5, 0xff, v18
	v_or3_b32 v3, v3, v4, v5
	v_lshlrev_b32_e32 v4, 16, v16
	v_lshlrev_b32_e32 v5, 8, v14
	v_perm_b32 v2, v2, v4, s27
	v_and_or_b32 v2, v5, s26, v2
	v_or_b32_sdwa v2, v2, v12 dst_sel:DWORD dst_unused:UNUSED_PAD src0_sel:DWORD src1_sel:BYTE_0
	global_store_dwordx2 v[6:7], v[2:3], off
	v_mov_b32_e32 v2, s19
	v_add_co_u32_e32 v6, vcc, s20, v6
	v_add_u32_e32 v29, s86, v29
	v_addc_co_u32_e32 v7, vcc, v7, v2, vcc
	v_cmp_le_i32_e32 vcc, s18, v29
	v_mov_b32_e32 v2, s22
	s_or_b64 s[4:5], vcc, s[4:5]
	v_add_co_u32_e32 v8, vcc, s21, v8
	v_addc_co_u32_e32 v9, vcc, v9, v2, vcc
	s_andn2_b64 exec, exec, s[4:5]
	s_cbranch_execz .LBB19_935
.LBB19_807:                             ; =>This Inner Loop Header: Depth=1
	global_load_dwordx4 v[2:5], v[8:9], off
	v_mov_b32_e32 v17, v11
	s_waitcnt vmcnt(0)
	v_lshlrev_b32_e32 v10, 16, v2
	v_div_scale_f32 v12, s[0:1], s95, s95, v10
	v_rcp_f32_e32 v13, v12
	v_div_scale_f32 v14, vcc, v10, s95, v10
	v_fma_f32 v15, -v12, v13, 1.0
	v_fmac_f32_e32 v13, v15, v13
	v_mul_f32_e32 v15, v14, v13
	v_fma_f32 v16, -v12, v15, v14
	v_fmac_f32_e32 v15, v16, v13
	v_fma_f32 v12, -v12, v15, v14
	v_div_fmas_f32 v12, v12, v13, v15
	v_div_fixup_f32 v15, v12, s95, v10
	v_and_b32_sdwa v14, v15, s23 dst_sel:DWORD dst_unused:UNUSED_PAD src0_sel:BYTE_3 src1_sel:DWORD
	v_and_b32_e32 v16, 0x7f800000, v15
	v_and_b32_e32 v10, 0x7fffff, v15
	v_or_b32_e32 v12, 0x7e, v14
	v_cmp_ne_u64_e32 vcc, s[6:7], v[16:17]
	s_and_saveexec_b64 s[0:1], vcc
	s_xor_b64 s[12:13], exec, s[0:1]
	s_cbranch_execz .LBB19_821
; %bb.808:                              ;   in Loop: Header=BB19_807 Depth=1
	v_and_b32_e32 v16, 0x7fffffff, v15
	v_mov_b32_e32 v17, v11
	v_cmp_gt_u64_e32 vcc, s[8:9], v[16:17]
	s_and_saveexec_b64 s[0:1], vcc
	s_xor_b64 s[14:15], exec, s[0:1]
	s_cbranch_execz .LBB19_820
; %bb.809:                              ;   in Loop: Header=BB19_807 Depth=1
	v_cmp_ne_u32_e32 vcc, 0, v15
	v_pk_mov_b32 v[12:13], 0, 0
	s_and_saveexec_b64 s[16:17], vcc
	s_cbranch_execz .LBB19_819
; %bb.810:                              ;   in Loop: Header=BB19_807 Depth=1
	v_bfe_u32 v12, v15, 23, 8
	v_sub_u32_e32 v15, 0x79, v12
	v_cmp_gt_u32_e32 vcc, s24, v12
	v_cndmask_b32_e32 v15, 0, v15, vcc
	v_cmp_eq_u32_e32 vcc, 0, v12
	v_cndmask_b32_e32 v15, v15, v28, vcc
	v_add_u32_e32 v13, 0xffffff81, v12
	v_or_b32_e32 v16, 0x800000, v10
	v_add_u32_e32 v12, 20, v15
	v_cndmask_b32_e32 v17, v13, v1, vcc
	v_cndmask_b32_e32 v10, v16, v10, vcc
	v_lshlrev_b64 v[12:13], v12, -1
	v_not_b32_e32 v12, v12
	v_lshrrev_b64 v[20:21], v15, v[10:11]
	v_not_b32_e32 v13, v13
	v_and_b32_e32 v12, v10, v12
	v_add_u32_e32 v16, 19, v15
	v_lshrrev_b32_e32 v10, 23, v20
	v_and_b32_e32 v13, 0, v13
	v_lshlrev_b64 v[18:19], v16, 1
	v_add3_u32 v16, v15, v17, v10
	v_bfe_u32 v10, v20, 20, 1
	v_add_u32_e32 v10, -1, v10
	v_cmp_eq_u64_e32 vcc, v[12:13], v[18:19]
	v_cndmask_b32_e32 v10, 0, v10, vcc
	v_add_u32_e32 v10, v10, v20
	v_and_b32_e32 v10, 0xfffff, v10
	v_add_co_u32_e32 v12, vcc, v10, v20
	v_add_u32_e32 v15, 6, v16
	v_addc_co_u32_e32 v13, vcc, 0, v21, vcc
	v_cmp_ne_u32_e32 vcc, 0, v15
                                        ; implicit-def: $vgpr10
	s_and_saveexec_b64 s[0:1], vcc
	s_xor_b64 s[0:1], exec, s[0:1]
; %bb.811:                              ;   in Loop: Header=BB19_807 Depth=1
	v_add_u32_e32 v10, 7, v16
	v_cmp_lt_u64_e32 vcc, s[10:11], v[12:13]
	v_cndmask_b32_e32 v10, v15, v10, vcc
	v_cndmask_b32_e64 v15, 0, 1, vcc
	v_lshrrev_b64 v[12:13], v15, v[12:13]
; %bb.812:                              ;   in Loop: Header=BB19_807 Depth=1
	s_andn2_saveexec_b64 s[0:1], s[0:1]
; %bb.813:                              ;   in Loop: Header=BB19_807 Depth=1
	v_bfe_u32 v10, v12, 23, 1
; %bb.814:                              ;   in Loop: Header=BB19_807 Depth=1
	s_or_b64 exec, exec, s[0:1]
	v_lshrrev_b64 v[12:13], 20, v[12:13]
	v_cmp_gt_i32_e32 vcc, 16, v10
	v_cndmask_b32_e32 v17, 0, v13, vcc
	v_cndmask_b32_e32 v16, 7, v12, vcc
	v_cmp_ne_u32_e32 vcc, 0, v10
	v_cmp_ne_u64_e64 s[0:1], 0, v[16:17]
	s_or_b64 s[0:1], vcc, s[0:1]
                                        ; implicit-def: $vgpr12_vgpr13
	s_and_saveexec_b64 s[28:29], s[0:1]
	s_xor_b64 s[0:1], exec, s[28:29]
; %bb.815:                              ;   in Loop: Header=BB19_807 Depth=1
	v_min_i32_e32 v10, 15, v10
	v_lshl_or_b32 v10, v10, 3, v14
	v_and_or_b32 v12, v16, 7, v10
                                        ; implicit-def: $vgpr14
; %bb.816:                              ;   in Loop: Header=BB19_807 Depth=1
	s_andn2_saveexec_b64 s[0:1], s[0:1]
; %bb.817:                              ;   in Loop: Header=BB19_807 Depth=1
	v_pk_mov_b32 v[12:13], v[14:15], v[14:15] op_sel:[0,1]
; %bb.818:                              ;   in Loop: Header=BB19_807 Depth=1
	s_or_b64 exec, exec, s[0:1]
.LBB19_819:                             ;   in Loop: Header=BB19_807 Depth=1
	s_or_b64 exec, exec, s[16:17]
.LBB19_820:                             ;   in Loop: Header=BB19_807 Depth=1
	s_andn2_saveexec_b64 s[0:1], s[14:15]
	s_or_b64 exec, exec, s[0:1]
                                        ; implicit-def: $vgpr15
.LBB19_821:                             ;   in Loop: Header=BB19_807 Depth=1
	s_andn2_saveexec_b64 s[0:1], s[12:13]
; %bb.822:                              ;   in Loop: Header=BB19_807 Depth=1
	v_or_b32_sdwa v13, v15, s25 dst_sel:DWORD dst_unused:UNUSED_PAD src0_sel:BYTE_3 src1_sel:DWORD
	v_cmp_eq_u64_e32 vcc, 0, v[10:11]
	v_cndmask_b32_e32 v12, v13, v12, vcc
; %bb.823:                              ;   in Loop: Header=BB19_807 Depth=1
	s_or_b64 exec, exec, s[0:1]
	v_and_b32_e32 v2, 0xffff0000, v2
	v_div_scale_f32 v10, s[0:1], s95, s95, v2
	v_rcp_f32_e32 v13, v10
	v_div_scale_f32 v14, vcc, v2, s95, v2
	v_mov_b32_e32 v17, v11
	v_fma_f32 v15, -v10, v13, 1.0
	v_fmac_f32_e32 v13, v15, v13
	v_mul_f32_e32 v15, v14, v13
	v_fma_f32 v16, -v10, v15, v14
	v_fmac_f32_e32 v15, v16, v13
	v_fma_f32 v10, -v10, v15, v14
	v_div_fmas_f32 v10, v10, v13, v15
	v_div_fixup_f32 v13, v10, s95, v2
	v_and_b32_sdwa v2, v13, s23 dst_sel:DWORD dst_unused:UNUSED_PAD src0_sel:BYTE_3 src1_sel:DWORD
	v_and_b32_e32 v16, 0x7f800000, v13
	v_and_b32_e32 v10, 0x7fffff, v13
	v_or_b32_e32 v14, 0x7e, v2
	v_cmp_ne_u64_e32 vcc, s[6:7], v[16:17]
	s_and_saveexec_b64 s[0:1], vcc
	s_xor_b64 s[12:13], exec, s[0:1]
	s_cbranch_execz .LBB19_837
; %bb.824:                              ;   in Loop: Header=BB19_807 Depth=1
	v_and_b32_e32 v16, 0x7fffffff, v13
	v_mov_b32_e32 v17, v11
	v_cmp_gt_u64_e32 vcc, s[8:9], v[16:17]
	s_and_saveexec_b64 s[0:1], vcc
	s_xor_b64 s[14:15], exec, s[0:1]
	s_cbranch_execz .LBB19_836
; %bb.825:                              ;   in Loop: Header=BB19_807 Depth=1
	v_cmp_ne_u32_e32 vcc, 0, v13
	v_pk_mov_b32 v[14:15], 0, 0
	s_and_saveexec_b64 s[16:17], vcc
	s_cbranch_execz .LBB19_835
; %bb.826:                              ;   in Loop: Header=BB19_807 Depth=1
	v_bfe_u32 v13, v13, 23, 8
	v_sub_u32_e32 v15, 0x79, v13
	v_cmp_gt_u32_e32 vcc, s24, v13
	v_cndmask_b32_e32 v15, 0, v15, vcc
	v_cmp_eq_u32_e32 vcc, 0, v13
	v_add_u32_e32 v14, 0xffffff81, v13
	v_cndmask_b32_e32 v17, v15, v28, vcc
	v_or_b32_e32 v16, 0x800000, v10
	v_cndmask_b32_e32 v13, v14, v1, vcc
	v_add_u32_e32 v14, 20, v17
	v_cndmask_b32_e32 v10, v16, v10, vcc
	v_lshlrev_b64 v[14:15], v14, -1
	v_not_b32_e32 v14, v14
	v_lshrrev_b64 v[20:21], v17, v[10:11]
	v_not_b32_e32 v15, v15
	v_and_b32_e32 v14, v10, v14
	v_add_u32_e32 v16, 19, v17
	v_lshrrev_b32_e32 v10, 23, v20
	v_and_b32_e32 v15, 0, v15
	v_lshlrev_b64 v[18:19], v16, 1
	v_add3_u32 v16, v17, v13, v10
	v_bfe_u32 v10, v20, 20, 1
	v_add_u32_e32 v10, -1, v10
	v_cmp_eq_u64_e32 vcc, v[14:15], v[18:19]
	v_cndmask_b32_e32 v10, 0, v10, vcc
	v_add_u32_e32 v10, v10, v20
	v_and_b32_e32 v10, 0xfffff, v10
	v_add_co_u32_e32 v14, vcc, v10, v20
	v_add_u32_e32 v13, 6, v16
	v_addc_co_u32_e32 v15, vcc, 0, v21, vcc
	v_cmp_ne_u32_e32 vcc, 0, v13
                                        ; implicit-def: $vgpr10
	s_and_saveexec_b64 s[0:1], vcc
	s_xor_b64 s[0:1], exec, s[0:1]
; %bb.827:                              ;   in Loop: Header=BB19_807 Depth=1
	v_add_u32_e32 v10, 7, v16
	v_cmp_lt_u64_e32 vcc, s[10:11], v[14:15]
	v_cndmask_b32_e32 v10, v13, v10, vcc
	v_cndmask_b32_e64 v13, 0, 1, vcc
	v_lshrrev_b64 v[14:15], v13, v[14:15]
; %bb.828:                              ;   in Loop: Header=BB19_807 Depth=1
	s_andn2_saveexec_b64 s[0:1], s[0:1]
; %bb.829:                              ;   in Loop: Header=BB19_807 Depth=1
	v_bfe_u32 v10, v14, 23, 1
; %bb.830:                              ;   in Loop: Header=BB19_807 Depth=1
	s_or_b64 exec, exec, s[0:1]
	v_lshrrev_b64 v[14:15], 20, v[14:15]
	v_cmp_gt_i32_e32 vcc, 16, v10
	v_cndmask_b32_e32 v17, 0, v15, vcc
	v_cndmask_b32_e32 v16, 7, v14, vcc
	v_cmp_ne_u32_e32 vcc, 0, v10
	v_cmp_ne_u64_e64 s[0:1], 0, v[16:17]
	s_or_b64 s[0:1], vcc, s[0:1]
                                        ; implicit-def: $vgpr14_vgpr15
	s_and_saveexec_b64 s[28:29], s[0:1]
	s_xor_b64 s[0:1], exec, s[28:29]
; %bb.831:                              ;   in Loop: Header=BB19_807 Depth=1
	v_min_i32_e32 v10, 15, v10
	v_lshl_or_b32 v2, v10, 3, v2
	v_and_or_b32 v14, v16, 7, v2
                                        ; implicit-def: $vgpr2
; %bb.832:                              ;   in Loop: Header=BB19_807 Depth=1
	s_andn2_saveexec_b64 s[0:1], s[0:1]
; %bb.833:                              ;   in Loop: Header=BB19_807 Depth=1
	v_pk_mov_b32 v[14:15], v[2:3], v[2:3] op_sel:[0,1]
; %bb.834:                              ;   in Loop: Header=BB19_807 Depth=1
	s_or_b64 exec, exec, s[0:1]
.LBB19_835:                             ;   in Loop: Header=BB19_807 Depth=1
	s_or_b64 exec, exec, s[16:17]
.LBB19_836:                             ;   in Loop: Header=BB19_807 Depth=1
	s_andn2_saveexec_b64 s[0:1], s[14:15]
	s_or_b64 exec, exec, s[0:1]
                                        ; implicit-def: $vgpr13
.LBB19_837:                             ;   in Loop: Header=BB19_807 Depth=1
	s_andn2_saveexec_b64 s[0:1], s[12:13]
; %bb.838:                              ;   in Loop: Header=BB19_807 Depth=1
	v_or_b32_sdwa v2, v13, s25 dst_sel:DWORD dst_unused:UNUSED_PAD src0_sel:BYTE_3 src1_sel:DWORD
	v_cmp_eq_u64_e32 vcc, 0, v[10:11]
	v_cndmask_b32_e32 v14, v2, v14, vcc
; %bb.839:                              ;   in Loop: Header=BB19_807 Depth=1
	s_or_b64 exec, exec, s[0:1]
	v_lshlrev_b32_e32 v2, 16, v3
	v_div_scale_f32 v10, s[0:1], s95, s95, v2
	v_rcp_f32_e32 v13, v10
	v_div_scale_f32 v15, vcc, v2, s95, v2
	v_mov_b32_e32 v19, v11
	v_fma_f32 v16, -v10, v13, 1.0
	v_fmac_f32_e32 v13, v16, v13
	v_mul_f32_e32 v16, v15, v13
	v_fma_f32 v17, -v10, v16, v15
	v_fmac_f32_e32 v16, v17, v13
	v_fma_f32 v10, -v10, v16, v15
	v_div_fmas_f32 v10, v10, v13, v16
	v_div_fixup_f32 v13, v10, s95, v2
	v_and_b32_sdwa v2, v13, s23 dst_sel:DWORD dst_unused:UNUSED_PAD src0_sel:BYTE_3 src1_sel:DWORD
	v_and_b32_e32 v18, 0x7f800000, v13
	v_and_b32_e32 v10, 0x7fffff, v13
	v_or_b32_e32 v16, 0x7e, v2
	v_cmp_ne_u64_e32 vcc, s[6:7], v[18:19]
	s_and_saveexec_b64 s[0:1], vcc
	s_xor_b64 s[12:13], exec, s[0:1]
	s_cbranch_execz .LBB19_853
; %bb.840:                              ;   in Loop: Header=BB19_807 Depth=1
	v_and_b32_e32 v18, 0x7fffffff, v13
	v_mov_b32_e32 v19, v11
	v_cmp_gt_u64_e32 vcc, s[8:9], v[18:19]
	s_and_saveexec_b64 s[0:1], vcc
	s_xor_b64 s[14:15], exec, s[0:1]
	s_cbranch_execz .LBB19_852
; %bb.841:                              ;   in Loop: Header=BB19_807 Depth=1
	v_cmp_ne_u32_e32 vcc, 0, v13
	v_pk_mov_b32 v[16:17], 0, 0
	s_and_saveexec_b64 s[16:17], vcc
	s_cbranch_execz .LBB19_851
; %bb.842:                              ;   in Loop: Header=BB19_807 Depth=1
	v_bfe_u32 v13, v13, 23, 8
	v_sub_u32_e32 v16, 0x79, v13
	v_cmp_gt_u32_e32 vcc, s24, v13
	v_add_u32_e32 v15, 0xffffff81, v13
	v_cndmask_b32_e32 v16, 0, v16, vcc
	v_cmp_eq_u32_e32 vcc, 0, v13
	v_cndmask_b32_e32 v13, v15, v1, vcc
	v_cndmask_b32_e32 v15, v16, v28, vcc
	v_or_b32_e32 v17, 0x800000, v10
	v_add_u32_e32 v16, 20, v15
	v_cndmask_b32_e32 v10, v17, v10, vcc
	v_lshlrev_b64 v[16:17], v16, -1
	v_not_b32_e32 v16, v16
	v_lshrrev_b64 v[20:21], v15, v[10:11]
	v_not_b32_e32 v17, v17
	v_and_b32_e32 v16, v10, v16
	v_add_u32_e32 v18, 19, v15
	v_lshrrev_b32_e32 v10, 23, v20
	v_and_b32_e32 v17, 0, v17
	v_lshlrev_b64 v[18:19], v18, 1
	v_add3_u32 v15, v15, v13, v10
	v_bfe_u32 v10, v20, 20, 1
	v_add_u32_e32 v10, -1, v10
	v_cmp_eq_u64_e32 vcc, v[16:17], v[18:19]
	v_cndmask_b32_e32 v10, 0, v10, vcc
	v_add_u32_e32 v10, v10, v20
	v_and_b32_e32 v10, 0xfffff, v10
	v_add_co_u32_e32 v16, vcc, v10, v20
	v_add_u32_e32 v13, 6, v15
	v_addc_co_u32_e32 v17, vcc, 0, v21, vcc
	v_cmp_ne_u32_e32 vcc, 0, v13
                                        ; implicit-def: $vgpr10
	s_and_saveexec_b64 s[0:1], vcc
	s_xor_b64 s[0:1], exec, s[0:1]
; %bb.843:                              ;   in Loop: Header=BB19_807 Depth=1
	v_add_u32_e32 v10, 7, v15
	v_cmp_lt_u64_e32 vcc, s[10:11], v[16:17]
	v_cndmask_b32_e32 v10, v13, v10, vcc
	v_cndmask_b32_e64 v13, 0, 1, vcc
	v_lshrrev_b64 v[16:17], v13, v[16:17]
; %bb.844:                              ;   in Loop: Header=BB19_807 Depth=1
	s_andn2_saveexec_b64 s[0:1], s[0:1]
; %bb.845:                              ;   in Loop: Header=BB19_807 Depth=1
	v_bfe_u32 v10, v16, 23, 1
; %bb.846:                              ;   in Loop: Header=BB19_807 Depth=1
	s_or_b64 exec, exec, s[0:1]
	v_lshrrev_b64 v[16:17], 20, v[16:17]
	v_cmp_gt_i32_e32 vcc, 16, v10
	v_cndmask_b32_e32 v19, 0, v17, vcc
	v_cndmask_b32_e32 v18, 7, v16, vcc
	v_cmp_ne_u32_e32 vcc, 0, v10
	v_cmp_ne_u64_e64 s[0:1], 0, v[18:19]
	s_or_b64 s[0:1], vcc, s[0:1]
                                        ; implicit-def: $vgpr16_vgpr17
	s_and_saveexec_b64 s[28:29], s[0:1]
	s_xor_b64 s[0:1], exec, s[28:29]
; %bb.847:                              ;   in Loop: Header=BB19_807 Depth=1
	v_min_i32_e32 v10, 15, v10
	v_lshl_or_b32 v2, v10, 3, v2
	v_and_or_b32 v16, v18, 7, v2
                                        ; implicit-def: $vgpr2
; %bb.848:                              ;   in Loop: Header=BB19_807 Depth=1
	s_andn2_saveexec_b64 s[0:1], s[0:1]
; %bb.849:                              ;   in Loop: Header=BB19_807 Depth=1
	v_pk_mov_b32 v[16:17], v[2:3], v[2:3] op_sel:[0,1]
; %bb.850:                              ;   in Loop: Header=BB19_807 Depth=1
	s_or_b64 exec, exec, s[0:1]
.LBB19_851:                             ;   in Loop: Header=BB19_807 Depth=1
	s_or_b64 exec, exec, s[16:17]
.LBB19_852:                             ;   in Loop: Header=BB19_807 Depth=1
	s_andn2_saveexec_b64 s[0:1], s[14:15]
	s_or_b64 exec, exec, s[0:1]
                                        ; implicit-def: $vgpr13
.LBB19_853:                             ;   in Loop: Header=BB19_807 Depth=1
	s_andn2_saveexec_b64 s[0:1], s[12:13]
; %bb.854:                              ;   in Loop: Header=BB19_807 Depth=1
	v_or_b32_sdwa v2, v13, s25 dst_sel:DWORD dst_unused:UNUSED_PAD src0_sel:BYTE_3 src1_sel:DWORD
	v_cmp_eq_u64_e32 vcc, 0, v[10:11]
	v_cndmask_b32_e32 v16, v2, v16, vcc
; %bb.855:                              ;   in Loop: Header=BB19_807 Depth=1
	s_or_b64 exec, exec, s[0:1]
	v_and_b32_e32 v2, 0xffff0000, v3
	v_div_scale_f32 v3, s[0:1], s95, s95, v2
	v_rcp_f32_e32 v10, v3
	v_div_scale_f32 v13, vcc, v2, s95, v2
	v_mov_b32_e32 v21, v11
	v_fma_f32 v15, -v3, v10, 1.0
	v_fmac_f32_e32 v10, v15, v10
	v_mul_f32_e32 v15, v13, v10
	v_fma_f32 v17, -v3, v15, v13
	v_fmac_f32_e32 v15, v17, v10
	v_fma_f32 v3, -v3, v15, v13
	v_div_fmas_f32 v3, v3, v10, v15
	v_div_fixup_f32 v13, v3, s95, v2
	v_and_b32_sdwa v18, v13, s23 dst_sel:DWORD dst_unused:UNUSED_PAD src0_sel:BYTE_3 src1_sel:DWORD
	v_and_b32_e32 v20, 0x7f800000, v13
	v_and_b32_e32 v10, 0x7fffff, v13
	v_or_b32_e32 v2, 0x7e, v18
	v_cmp_ne_u64_e32 vcc, s[6:7], v[20:21]
	s_and_saveexec_b64 s[0:1], vcc
	s_xor_b64 s[12:13], exec, s[0:1]
	s_cbranch_execz .LBB19_869
; %bb.856:                              ;   in Loop: Header=BB19_807 Depth=1
	v_and_b32_e32 v20, 0x7fffffff, v13
	v_mov_b32_e32 v21, v11
	v_cmp_gt_u64_e32 vcc, s[8:9], v[20:21]
	s_and_saveexec_b64 s[0:1], vcc
	s_xor_b64 s[14:15], exec, s[0:1]
	s_cbranch_execz .LBB19_868
; %bb.857:                              ;   in Loop: Header=BB19_807 Depth=1
	v_cmp_ne_u32_e32 vcc, 0, v13
	v_pk_mov_b32 v[2:3], 0, 0
	s_and_saveexec_b64 s[16:17], vcc
	s_cbranch_execz .LBB19_867
; %bb.858:                              ;   in Loop: Header=BB19_807 Depth=1
	v_bfe_u32 v2, v13, 23, 8
	v_sub_u32_e32 v13, 0x79, v2
	v_cmp_gt_u32_e32 vcc, s24, v2
	v_cndmask_b32_e32 v13, 0, v13, vcc
	v_cmp_eq_u32_e32 vcc, 0, v2
	v_cndmask_b32_e32 v13, v13, v28, vcc
	v_add_u32_e32 v3, 0xffffff81, v2
	v_or_b32_e32 v15, 0x800000, v10
	v_add_u32_e32 v2, 20, v13
	v_cndmask_b32_e32 v17, v3, v1, vcc
	v_cndmask_b32_e32 v10, v15, v10, vcc
	v_lshlrev_b64 v[2:3], v2, -1
	v_not_b32_e32 v2, v2
	v_lshrrev_b64 v[22:23], v13, v[10:11]
	v_not_b32_e32 v3, v3
	v_and_b32_e32 v2, v10, v2
	v_add_u32_e32 v15, 19, v13
	v_lshrrev_b32_e32 v10, 23, v22
	v_and_b32_e32 v3, 0, v3
	v_lshlrev_b64 v[20:21], v15, 1
	v_add3_u32 v15, v13, v17, v10
	v_bfe_u32 v10, v22, 20, 1
	v_add_u32_e32 v10, -1, v10
	v_cmp_eq_u64_e32 vcc, v[2:3], v[20:21]
	v_cndmask_b32_e32 v2, 0, v10, vcc
	v_add_u32_e32 v2, v2, v22
	v_and_b32_e32 v2, 0xfffff, v2
	v_add_co_u32_e32 v2, vcc, v2, v22
	v_add_u32_e32 v13, 6, v15
	v_addc_co_u32_e32 v3, vcc, 0, v23, vcc
	v_cmp_ne_u32_e32 vcc, 0, v13
                                        ; implicit-def: $vgpr10
	s_and_saveexec_b64 s[0:1], vcc
	s_xor_b64 s[0:1], exec, s[0:1]
; %bb.859:                              ;   in Loop: Header=BB19_807 Depth=1
	v_add_u32_e32 v10, 7, v15
	v_cmp_lt_u64_e32 vcc, s[10:11], v[2:3]
	v_cndmask_b32_e32 v10, v13, v10, vcc
	v_cndmask_b32_e64 v13, 0, 1, vcc
	v_lshrrev_b64 v[2:3], v13, v[2:3]
; %bb.860:                              ;   in Loop: Header=BB19_807 Depth=1
	s_andn2_saveexec_b64 s[0:1], s[0:1]
; %bb.861:                              ;   in Loop: Header=BB19_807 Depth=1
	v_bfe_u32 v10, v2, 23, 1
; %bb.862:                              ;   in Loop: Header=BB19_807 Depth=1
	s_or_b64 exec, exec, s[0:1]
	v_lshrrev_b64 v[2:3], 20, v[2:3]
	v_cmp_gt_i32_e32 vcc, 16, v10
	v_cndmask_b32_e32 v21, 0, v3, vcc
	v_cndmask_b32_e32 v20, 7, v2, vcc
	v_cmp_ne_u32_e32 vcc, 0, v10
	v_cmp_ne_u64_e64 s[0:1], 0, v[20:21]
	s_or_b64 s[0:1], vcc, s[0:1]
                                        ; implicit-def: $vgpr2_vgpr3
	s_and_saveexec_b64 s[28:29], s[0:1]
	s_xor_b64 s[0:1], exec, s[28:29]
; %bb.863:                              ;   in Loop: Header=BB19_807 Depth=1
	v_min_i32_e32 v2, 15, v10
	v_lshl_or_b32 v2, v2, 3, v18
	v_and_or_b32 v2, v20, 7, v2
                                        ; implicit-def: $vgpr18
; %bb.864:                              ;   in Loop: Header=BB19_807 Depth=1
	s_andn2_saveexec_b64 s[0:1], s[0:1]
; %bb.865:                              ;   in Loop: Header=BB19_807 Depth=1
	v_pk_mov_b32 v[2:3], v[18:19], v[18:19] op_sel:[0,1]
; %bb.866:                              ;   in Loop: Header=BB19_807 Depth=1
	s_or_b64 exec, exec, s[0:1]
.LBB19_867:                             ;   in Loop: Header=BB19_807 Depth=1
	s_or_b64 exec, exec, s[16:17]
.LBB19_868:                             ;   in Loop: Header=BB19_807 Depth=1
	s_andn2_saveexec_b64 s[0:1], s[14:15]
	s_or_b64 exec, exec, s[0:1]
                                        ; implicit-def: $vgpr13
.LBB19_869:                             ;   in Loop: Header=BB19_807 Depth=1
	s_andn2_saveexec_b64 s[0:1], s[12:13]
; %bb.870:                              ;   in Loop: Header=BB19_807 Depth=1
	v_or_b32_sdwa v3, v13, s25 dst_sel:DWORD dst_unused:UNUSED_PAD src0_sel:BYTE_3 src1_sel:DWORD
	v_cmp_eq_u64_e32 vcc, 0, v[10:11]
	v_cndmask_b32_e32 v2, v3, v2, vcc
; %bb.871:                              ;   in Loop: Header=BB19_807 Depth=1
	s_or_b64 exec, exec, s[0:1]
	v_lshlrev_b32_e32 v3, 16, v4
	v_div_scale_f32 v10, s[0:1], s95, s95, v3
	v_rcp_f32_e32 v13, v10
	v_div_scale_f32 v15, vcc, v3, s95, v3
	v_mov_b32_e32 v23, v11
	v_fma_f32 v17, -v10, v13, 1.0
	v_fmac_f32_e32 v13, v17, v13
	v_mul_f32_e32 v17, v15, v13
	v_fma_f32 v18, -v10, v17, v15
	v_fmac_f32_e32 v17, v18, v13
	v_fma_f32 v10, -v10, v17, v15
	v_div_fmas_f32 v10, v10, v13, v17
	v_div_fixup_f32 v3, v10, s95, v3
	v_and_b32_sdwa v20, v3, s23 dst_sel:DWORD dst_unused:UNUSED_PAD src0_sel:BYTE_3 src1_sel:DWORD
	v_and_b32_e32 v22, 0x7f800000, v3
	v_and_b32_e32 v10, 0x7fffff, v3
	v_or_b32_e32 v18, 0x7e, v20
	v_cmp_ne_u64_e32 vcc, s[6:7], v[22:23]
	s_and_saveexec_b64 s[0:1], vcc
	s_xor_b64 s[12:13], exec, s[0:1]
	s_cbranch_execz .LBB19_885
; %bb.872:                              ;   in Loop: Header=BB19_807 Depth=1
	v_and_b32_e32 v22, 0x7fffffff, v3
	v_mov_b32_e32 v23, v11
	v_cmp_gt_u64_e32 vcc, s[8:9], v[22:23]
	s_and_saveexec_b64 s[0:1], vcc
	s_xor_b64 s[14:15], exec, s[0:1]
	s_cbranch_execz .LBB19_884
; %bb.873:                              ;   in Loop: Header=BB19_807 Depth=1
	v_cmp_ne_u32_e32 vcc, 0, v3
	v_pk_mov_b32 v[18:19], 0, 0
	s_and_saveexec_b64 s[16:17], vcc
	s_cbranch_execz .LBB19_883
; %bb.874:                              ;   in Loop: Header=BB19_807 Depth=1
	v_bfe_u32 v3, v3, 23, 8
	v_sub_u32_e32 v15, 0x79, v3
	v_cmp_gt_u32_e32 vcc, s24, v3
	v_add_u32_e32 v13, 0xffffff81, v3
	v_cndmask_b32_e32 v15, 0, v15, vcc
	v_cmp_eq_u32_e32 vcc, 0, v3
	v_cndmask_b32_e32 v3, v13, v1, vcc
	v_cndmask_b32_e32 v13, v15, v28, vcc
	v_or_b32_e32 v17, 0x800000, v10
	v_add_u32_e32 v15, 20, v13
	v_cndmask_b32_e32 v10, v17, v10, vcc
	v_lshlrev_b64 v[18:19], v15, -1
	v_not_b32_e32 v15, v19
	v_not_b32_e32 v17, v18
	v_lshrrev_b64 v[24:25], v13, v[10:11]
	v_and_b32_e32 v19, 0, v15
	v_and_b32_e32 v18, v10, v17
	v_add_u32_e32 v15, 19, v13
	v_lshrrev_b32_e32 v10, 23, v24
	v_lshlrev_b64 v[22:23], v15, 1
	v_add3_u32 v13, v13, v3, v10
	v_bfe_u32 v3, v24, 20, 1
	v_add_u32_e32 v3, -1, v3
	v_cmp_eq_u64_e32 vcc, v[18:19], v[22:23]
	v_cndmask_b32_e32 v3, 0, v3, vcc
	v_add_u32_e32 v3, v3, v24
	v_and_b32_e32 v3, 0xfffff, v3
	v_add_co_u32_e32 v18, vcc, v3, v24
	v_add_u32_e32 v10, 6, v13
	v_addc_co_u32_e32 v19, vcc, 0, v25, vcc
	v_cmp_ne_u32_e32 vcc, 0, v10
                                        ; implicit-def: $vgpr3
	s_and_saveexec_b64 s[0:1], vcc
	s_xor_b64 s[0:1], exec, s[0:1]
; %bb.875:                              ;   in Loop: Header=BB19_807 Depth=1
	v_add_u32_e32 v3, 7, v13
	v_cmp_lt_u64_e32 vcc, s[10:11], v[18:19]
	v_cndmask_b32_e32 v3, v10, v3, vcc
	v_cndmask_b32_e64 v10, 0, 1, vcc
	v_lshrrev_b64 v[18:19], v10, v[18:19]
; %bb.876:                              ;   in Loop: Header=BB19_807 Depth=1
	s_andn2_saveexec_b64 s[0:1], s[0:1]
; %bb.877:                              ;   in Loop: Header=BB19_807 Depth=1
	v_bfe_u32 v3, v18, 23, 1
; %bb.878:                              ;   in Loop: Header=BB19_807 Depth=1
	s_or_b64 exec, exec, s[0:1]
	v_lshrrev_b64 v[18:19], 20, v[18:19]
	v_cmp_gt_i32_e32 vcc, 16, v3
	v_cndmask_b32_e32 v23, 0, v19, vcc
	v_cndmask_b32_e32 v22, 7, v18, vcc
	v_cmp_ne_u32_e32 vcc, 0, v3
	v_cmp_ne_u64_e64 s[0:1], 0, v[22:23]
	s_or_b64 s[0:1], vcc, s[0:1]
                                        ; implicit-def: $vgpr18_vgpr19
	s_and_saveexec_b64 s[28:29], s[0:1]
	s_xor_b64 s[0:1], exec, s[28:29]
; %bb.879:                              ;   in Loop: Header=BB19_807 Depth=1
	v_min_i32_e32 v3, 15, v3
	v_lshl_or_b32 v3, v3, 3, v20
	v_and_or_b32 v18, v22, 7, v3
                                        ; implicit-def: $vgpr20
; %bb.880:                              ;   in Loop: Header=BB19_807 Depth=1
	s_andn2_saveexec_b64 s[0:1], s[0:1]
; %bb.881:                              ;   in Loop: Header=BB19_807 Depth=1
	v_pk_mov_b32 v[18:19], v[20:21], v[20:21] op_sel:[0,1]
; %bb.882:                              ;   in Loop: Header=BB19_807 Depth=1
	s_or_b64 exec, exec, s[0:1]
.LBB19_883:                             ;   in Loop: Header=BB19_807 Depth=1
	s_or_b64 exec, exec, s[16:17]
.LBB19_884:                             ;   in Loop: Header=BB19_807 Depth=1
	s_andn2_saveexec_b64 s[0:1], s[14:15]
	s_or_b64 exec, exec, s[0:1]
                                        ; implicit-def: $vgpr3
.LBB19_885:                             ;   in Loop: Header=BB19_807 Depth=1
	s_andn2_saveexec_b64 s[0:1], s[12:13]
; %bb.886:                              ;   in Loop: Header=BB19_807 Depth=1
	v_or_b32_sdwa v3, v3, s25 dst_sel:DWORD dst_unused:UNUSED_PAD src0_sel:BYTE_3 src1_sel:DWORD
	v_cmp_eq_u64_e32 vcc, 0, v[10:11]
	v_cndmask_b32_e32 v18, v3, v18, vcc
; %bb.887:                              ;   in Loop: Header=BB19_807 Depth=1
	s_or_b64 exec, exec, s[0:1]
	v_and_b32_e32 v3, 0xffff0000, v4
	v_div_scale_f32 v4, s[0:1], s95, s95, v3
	v_rcp_f32_e32 v10, v4
	v_div_scale_f32 v13, vcc, v3, s95, v3
	v_mov_b32_e32 v23, v11
	v_fma_f32 v15, -v4, v10, 1.0
	v_fmac_f32_e32 v10, v15, v10
	v_mul_f32_e32 v15, v13, v10
	v_fma_f32 v17, -v4, v15, v13
	v_fmac_f32_e32 v15, v17, v10
	v_fma_f32 v4, -v4, v15, v13
	v_div_fmas_f32 v4, v4, v10, v15
	v_div_fixup_f32 v3, v4, s95, v3
	v_and_b32_sdwa v4, v3, s23 dst_sel:DWORD dst_unused:UNUSED_PAD src0_sel:BYTE_3 src1_sel:DWORD
	v_and_b32_e32 v22, 0x7f800000, v3
	v_and_b32_e32 v10, 0x7fffff, v3
	v_or_b32_e32 v20, 0x7e, v4
	v_cmp_ne_u64_e32 vcc, s[6:7], v[22:23]
	s_and_saveexec_b64 s[0:1], vcc
	s_xor_b64 s[12:13], exec, s[0:1]
	s_cbranch_execz .LBB19_901
; %bb.888:                              ;   in Loop: Header=BB19_807 Depth=1
	v_and_b32_e32 v22, 0x7fffffff, v3
	v_mov_b32_e32 v23, v11
	v_cmp_gt_u64_e32 vcc, s[8:9], v[22:23]
	s_and_saveexec_b64 s[0:1], vcc
	s_xor_b64 s[14:15], exec, s[0:1]
	s_cbranch_execz .LBB19_900
; %bb.889:                              ;   in Loop: Header=BB19_807 Depth=1
	v_cmp_ne_u32_e32 vcc, 0, v3
	v_pk_mov_b32 v[20:21], 0, 0
	s_and_saveexec_b64 s[16:17], vcc
	s_cbranch_execz .LBB19_899
; %bb.890:                              ;   in Loop: Header=BB19_807 Depth=1
	v_bfe_u32 v3, v3, 23, 8
	v_sub_u32_e32 v15, 0x79, v3
	v_cmp_gt_u32_e32 vcc, s24, v3
	v_add_u32_e32 v13, 0xffffff81, v3
	v_cndmask_b32_e32 v15, 0, v15, vcc
	v_cmp_eq_u32_e32 vcc, 0, v3
	v_cndmask_b32_e32 v3, v13, v1, vcc
	v_cndmask_b32_e32 v13, v15, v28, vcc
	v_or_b32_e32 v17, 0x800000, v10
	v_add_u32_e32 v15, 20, v13
	v_cndmask_b32_e32 v10, v17, v10, vcc
	v_lshlrev_b64 v[20:21], v15, -1
	v_not_b32_e32 v15, v21
	v_not_b32_e32 v17, v20
	v_lshrrev_b64 v[24:25], v13, v[10:11]
	v_and_b32_e32 v21, 0, v15
	v_and_b32_e32 v20, v10, v17
	v_add_u32_e32 v15, 19, v13
	v_lshrrev_b32_e32 v10, 23, v24
	v_lshlrev_b64 v[22:23], v15, 1
	v_add3_u32 v13, v13, v3, v10
	v_bfe_u32 v3, v24, 20, 1
	v_add_u32_e32 v3, -1, v3
	v_cmp_eq_u64_e32 vcc, v[20:21], v[22:23]
	v_cndmask_b32_e32 v3, 0, v3, vcc
	v_add_u32_e32 v3, v3, v24
	v_and_b32_e32 v3, 0xfffff, v3
	v_add_co_u32_e32 v20, vcc, v3, v24
	v_add_u32_e32 v10, 6, v13
	v_addc_co_u32_e32 v21, vcc, 0, v25, vcc
	v_cmp_ne_u32_e32 vcc, 0, v10
                                        ; implicit-def: $vgpr3
	s_and_saveexec_b64 s[0:1], vcc
	s_xor_b64 s[0:1], exec, s[0:1]
; %bb.891:                              ;   in Loop: Header=BB19_807 Depth=1
	v_add_u32_e32 v3, 7, v13
	v_cmp_lt_u64_e32 vcc, s[10:11], v[20:21]
	v_cndmask_b32_e32 v3, v10, v3, vcc
	v_cndmask_b32_e64 v10, 0, 1, vcc
	v_lshrrev_b64 v[20:21], v10, v[20:21]
; %bb.892:                              ;   in Loop: Header=BB19_807 Depth=1
	s_andn2_saveexec_b64 s[0:1], s[0:1]
; %bb.893:                              ;   in Loop: Header=BB19_807 Depth=1
	v_bfe_u32 v3, v20, 23, 1
; %bb.894:                              ;   in Loop: Header=BB19_807 Depth=1
	s_or_b64 exec, exec, s[0:1]
	v_lshrrev_b64 v[20:21], 20, v[20:21]
	v_cmp_gt_i32_e32 vcc, 16, v3
	v_cndmask_b32_e32 v23, 0, v21, vcc
	v_cndmask_b32_e32 v22, 7, v20, vcc
	v_cmp_ne_u32_e32 vcc, 0, v3
	v_cmp_ne_u64_e64 s[0:1], 0, v[22:23]
	s_or_b64 s[0:1], vcc, s[0:1]
                                        ; implicit-def: $vgpr20_vgpr21
	s_and_saveexec_b64 s[28:29], s[0:1]
	s_xor_b64 s[0:1], exec, s[28:29]
; %bb.895:                              ;   in Loop: Header=BB19_807 Depth=1
	v_min_i32_e32 v3, 15, v3
	v_lshl_or_b32 v3, v3, 3, v4
	v_and_or_b32 v20, v22, 7, v3
                                        ; implicit-def: $vgpr4
; %bb.896:                              ;   in Loop: Header=BB19_807 Depth=1
	s_andn2_saveexec_b64 s[0:1], s[0:1]
; %bb.897:                              ;   in Loop: Header=BB19_807 Depth=1
	v_pk_mov_b32 v[20:21], v[4:5], v[4:5] op_sel:[0,1]
; %bb.898:                              ;   in Loop: Header=BB19_807 Depth=1
	s_or_b64 exec, exec, s[0:1]
.LBB19_899:                             ;   in Loop: Header=BB19_807 Depth=1
	s_or_b64 exec, exec, s[16:17]
.LBB19_900:                             ;   in Loop: Header=BB19_807 Depth=1
	s_andn2_saveexec_b64 s[0:1], s[14:15]
	s_or_b64 exec, exec, s[0:1]
                                        ; implicit-def: $vgpr3
.LBB19_901:                             ;   in Loop: Header=BB19_807 Depth=1
	s_andn2_saveexec_b64 s[0:1], s[12:13]
; %bb.902:                              ;   in Loop: Header=BB19_807 Depth=1
	v_or_b32_sdwa v3, v3, s25 dst_sel:DWORD dst_unused:UNUSED_PAD src0_sel:BYTE_3 src1_sel:DWORD
	v_cmp_eq_u64_e32 vcc, 0, v[10:11]
	v_cndmask_b32_e32 v20, v3, v20, vcc
; %bb.903:                              ;   in Loop: Header=BB19_807 Depth=1
	s_or_b64 exec, exec, s[0:1]
	v_lshlrev_b32_e32 v3, 16, v5
	v_div_scale_f32 v4, s[0:1], s95, s95, v3
	v_rcp_f32_e32 v10, v4
	v_div_scale_f32 v13, vcc, v3, s95, v3
	v_mov_b32_e32 v25, v11
	v_fma_f32 v15, -v4, v10, 1.0
	v_fmac_f32_e32 v10, v15, v10
	v_mul_f32_e32 v15, v13, v10
	v_fma_f32 v17, -v4, v15, v13
	v_fmac_f32_e32 v15, v17, v10
	v_fma_f32 v4, -v4, v15, v13
	v_div_fmas_f32 v4, v4, v10, v15
	v_div_fixup_f32 v3, v4, s95, v3
	v_and_b32_sdwa v4, v3, s23 dst_sel:DWORD dst_unused:UNUSED_PAD src0_sel:BYTE_3 src1_sel:DWORD
	v_and_b32_e32 v24, 0x7f800000, v3
	v_and_b32_e32 v10, 0x7fffff, v3
	v_or_b32_e32 v22, 0x7e, v4
	v_cmp_ne_u64_e32 vcc, s[6:7], v[24:25]
	s_and_saveexec_b64 s[0:1], vcc
	s_xor_b64 s[12:13], exec, s[0:1]
	s_cbranch_execz .LBB19_917
; %bb.904:                              ;   in Loop: Header=BB19_807 Depth=1
	v_and_b32_e32 v24, 0x7fffffff, v3
	v_mov_b32_e32 v25, v11
	v_cmp_gt_u64_e32 vcc, s[8:9], v[24:25]
	s_and_saveexec_b64 s[0:1], vcc
	s_xor_b64 s[14:15], exec, s[0:1]
	s_cbranch_execz .LBB19_916
; %bb.905:                              ;   in Loop: Header=BB19_807 Depth=1
	v_cmp_ne_u32_e32 vcc, 0, v3
	v_pk_mov_b32 v[22:23], 0, 0
	s_and_saveexec_b64 s[16:17], vcc
	s_cbranch_execz .LBB19_915
; %bb.906:                              ;   in Loop: Header=BB19_807 Depth=1
	v_bfe_u32 v3, v3, 23, 8
	v_sub_u32_e32 v15, 0x79, v3
	v_cmp_gt_u32_e32 vcc, s24, v3
	v_add_u32_e32 v13, 0xffffff81, v3
	v_cndmask_b32_e32 v15, 0, v15, vcc
	v_cmp_eq_u32_e32 vcc, 0, v3
	v_cndmask_b32_e32 v3, v13, v1, vcc
	v_cndmask_b32_e32 v13, v15, v28, vcc
	v_or_b32_e32 v17, 0x800000, v10
	v_add_u32_e32 v15, 20, v13
	v_cndmask_b32_e32 v10, v17, v10, vcc
	v_lshlrev_b64 v[22:23], v15, -1
	v_not_b32_e32 v15, v23
	v_not_b32_e32 v17, v22
	v_lshrrev_b64 v[26:27], v13, v[10:11]
	v_and_b32_e32 v23, 0, v15
	v_and_b32_e32 v22, v10, v17
	v_add_u32_e32 v15, 19, v13
	v_lshrrev_b32_e32 v10, 23, v26
	v_lshlrev_b64 v[24:25], v15, 1
	v_add3_u32 v13, v13, v3, v10
	v_bfe_u32 v3, v26, 20, 1
	v_add_u32_e32 v3, -1, v3
	v_cmp_eq_u64_e32 vcc, v[22:23], v[24:25]
	v_cndmask_b32_e32 v3, 0, v3, vcc
	v_add_u32_e32 v3, v3, v26
	v_and_b32_e32 v3, 0xfffff, v3
	v_add_co_u32_e32 v22, vcc, v3, v26
	v_add_u32_e32 v10, 6, v13
	v_addc_co_u32_e32 v23, vcc, 0, v27, vcc
	v_cmp_ne_u32_e32 vcc, 0, v10
                                        ; implicit-def: $vgpr3
	s_and_saveexec_b64 s[0:1], vcc
	s_xor_b64 s[0:1], exec, s[0:1]
; %bb.907:                              ;   in Loop: Header=BB19_807 Depth=1
	v_add_u32_e32 v3, 7, v13
	v_cmp_lt_u64_e32 vcc, s[10:11], v[22:23]
	v_cndmask_b32_e32 v3, v10, v3, vcc
	v_cndmask_b32_e64 v10, 0, 1, vcc
	v_lshrrev_b64 v[22:23], v10, v[22:23]
; %bb.908:                              ;   in Loop: Header=BB19_807 Depth=1
	s_andn2_saveexec_b64 s[0:1], s[0:1]
; %bb.909:                              ;   in Loop: Header=BB19_807 Depth=1
	v_bfe_u32 v3, v22, 23, 1
; %bb.910:                              ;   in Loop: Header=BB19_807 Depth=1
	s_or_b64 exec, exec, s[0:1]
	v_lshrrev_b64 v[22:23], 20, v[22:23]
	v_cmp_gt_i32_e32 vcc, 16, v3
	v_cndmask_b32_e32 v25, 0, v23, vcc
	v_cndmask_b32_e32 v24, 7, v22, vcc
	v_cmp_ne_u32_e32 vcc, 0, v3
	v_cmp_ne_u64_e64 s[0:1], 0, v[24:25]
	s_or_b64 s[0:1], vcc, s[0:1]
                                        ; implicit-def: $vgpr22_vgpr23
	s_and_saveexec_b64 s[28:29], s[0:1]
	s_xor_b64 s[0:1], exec, s[28:29]
; %bb.911:                              ;   in Loop: Header=BB19_807 Depth=1
	v_min_i32_e32 v3, 15, v3
	v_lshl_or_b32 v3, v3, 3, v4
	v_and_or_b32 v22, v24, 7, v3
                                        ; implicit-def: $vgpr4
; %bb.912:                              ;   in Loop: Header=BB19_807 Depth=1
	s_andn2_saveexec_b64 s[0:1], s[0:1]
; %bb.913:                              ;   in Loop: Header=BB19_807 Depth=1
	v_pk_mov_b32 v[22:23], v[4:5], v[4:5] op_sel:[0,1]
; %bb.914:                              ;   in Loop: Header=BB19_807 Depth=1
	s_or_b64 exec, exec, s[0:1]
.LBB19_915:                             ;   in Loop: Header=BB19_807 Depth=1
	s_or_b64 exec, exec, s[16:17]
.LBB19_916:                             ;   in Loop: Header=BB19_807 Depth=1
	s_andn2_saveexec_b64 s[0:1], s[14:15]
	s_or_b64 exec, exec, s[0:1]
                                        ; implicit-def: $vgpr3
.LBB19_917:                             ;   in Loop: Header=BB19_807 Depth=1
	s_andn2_saveexec_b64 s[0:1], s[12:13]
; %bb.918:                              ;   in Loop: Header=BB19_807 Depth=1
	v_or_b32_sdwa v3, v3, s25 dst_sel:DWORD dst_unused:UNUSED_PAD src0_sel:BYTE_3 src1_sel:DWORD
	v_cmp_eq_u64_e32 vcc, 0, v[10:11]
	v_cndmask_b32_e32 v22, v3, v22, vcc
; %bb.919:                              ;   in Loop: Header=BB19_807 Depth=1
	s_or_b64 exec, exec, s[0:1]
	v_and_b32_e32 v3, 0xffff0000, v5
	v_div_scale_f32 v4, s[0:1], s95, s95, v3
	v_rcp_f32_e32 v5, v4
	v_div_scale_f32 v10, vcc, v3, s95, v3
	v_mov_b32_e32 v27, v11
	v_fma_f32 v13, -v4, v5, 1.0
	v_fmac_f32_e32 v5, v13, v5
	v_mul_f32_e32 v13, v10, v5
	v_fma_f32 v15, -v4, v13, v10
	v_fmac_f32_e32 v13, v15, v5
	v_fma_f32 v4, -v4, v13, v10
	v_div_fmas_f32 v4, v4, v5, v13
	v_div_fixup_f32 v3, v4, s95, v3
	v_and_b32_sdwa v4, v3, s23 dst_sel:DWORD dst_unused:UNUSED_PAD src0_sel:BYTE_3 src1_sel:DWORD
	v_and_b32_e32 v26, 0x7f800000, v3
	v_and_b32_e32 v10, 0x7fffff, v3
	v_or_b32_e32 v24, 0x7e, v4
	v_cmp_ne_u64_e32 vcc, s[6:7], v[26:27]
	s_and_saveexec_b64 s[0:1], vcc
	s_xor_b64 s[12:13], exec, s[0:1]
	s_cbranch_execz .LBB19_933
; %bb.920:                              ;   in Loop: Header=BB19_807 Depth=1
	v_and_b32_e32 v26, 0x7fffffff, v3
	v_mov_b32_e32 v27, v11
	v_cmp_gt_u64_e32 vcc, s[8:9], v[26:27]
	s_and_saveexec_b64 s[0:1], vcc
	s_xor_b64 s[14:15], exec, s[0:1]
	s_cbranch_execz .LBB19_932
; %bb.921:                              ;   in Loop: Header=BB19_807 Depth=1
	v_cmp_ne_u32_e32 vcc, 0, v3
	v_pk_mov_b32 v[24:25], 0, 0
	s_and_saveexec_b64 s[16:17], vcc
	s_cbranch_execz .LBB19_931
; %bb.922:                              ;   in Loop: Header=BB19_807 Depth=1
	v_bfe_u32 v3, v3, 23, 8
	v_sub_u32_e32 v13, 0x79, v3
	v_cmp_gt_u32_e32 vcc, s24, v3
	v_add_u32_e32 v5, 0xffffff81, v3
	v_cndmask_b32_e32 v13, 0, v13, vcc
	v_cmp_eq_u32_e32 vcc, 0, v3
	v_cndmask_b32_e32 v3, v5, v1, vcc
	v_cndmask_b32_e32 v5, v13, v28, vcc
	v_or_b32_e32 v15, 0x800000, v10
	v_add_u32_e32 v13, 20, v5
	v_cndmask_b32_e32 v10, v15, v10, vcc
	v_lshlrev_b64 v[24:25], v13, -1
	v_not_b32_e32 v13, v25
	v_not_b32_e32 v15, v24
	v_lshrrev_b64 v[30:31], v5, v[10:11]
	v_and_b32_e32 v25, 0, v13
	v_and_b32_e32 v24, v10, v15
	v_add_u32_e32 v13, 19, v5
	v_lshrrev_b32_e32 v10, 23, v30
	v_lshlrev_b64 v[26:27], v13, 1
	v_add3_u32 v10, v5, v3, v10
	v_bfe_u32 v3, v30, 20, 1
	v_add_u32_e32 v3, -1, v3
	v_cmp_eq_u64_e32 vcc, v[24:25], v[26:27]
	v_cndmask_b32_e32 v3, 0, v3, vcc
	v_add_u32_e32 v3, v3, v30
	v_and_b32_e32 v3, 0xfffff, v3
	v_add_co_u32_e32 v24, vcc, v3, v30
	v_add_u32_e32 v5, 6, v10
	v_addc_co_u32_e32 v25, vcc, 0, v31, vcc
	v_cmp_ne_u32_e32 vcc, 0, v5
                                        ; implicit-def: $vgpr3
	s_and_saveexec_b64 s[0:1], vcc
	s_xor_b64 s[0:1], exec, s[0:1]
; %bb.923:                              ;   in Loop: Header=BB19_807 Depth=1
	v_add_u32_e32 v3, 7, v10
	v_cmp_lt_u64_e32 vcc, s[10:11], v[24:25]
	v_cndmask_b32_e32 v3, v5, v3, vcc
	v_cndmask_b32_e64 v5, 0, 1, vcc
	v_lshrrev_b64 v[24:25], v5, v[24:25]
; %bb.924:                              ;   in Loop: Header=BB19_807 Depth=1
	s_andn2_saveexec_b64 s[0:1], s[0:1]
; %bb.925:                              ;   in Loop: Header=BB19_807 Depth=1
	v_bfe_u32 v3, v24, 23, 1
; %bb.926:                              ;   in Loop: Header=BB19_807 Depth=1
	s_or_b64 exec, exec, s[0:1]
	v_lshrrev_b64 v[24:25], 20, v[24:25]
	v_cmp_gt_i32_e32 vcc, 16, v3
	v_cndmask_b32_e32 v27, 0, v25, vcc
	v_cndmask_b32_e32 v26, 7, v24, vcc
	v_cmp_ne_u32_e32 vcc, 0, v3
	v_cmp_ne_u64_e64 s[0:1], 0, v[26:27]
	s_or_b64 s[0:1], vcc, s[0:1]
                                        ; implicit-def: $vgpr24_vgpr25
	s_and_saveexec_b64 s[28:29], s[0:1]
	s_xor_b64 s[0:1], exec, s[28:29]
; %bb.927:                              ;   in Loop: Header=BB19_807 Depth=1
	v_min_i32_e32 v3, 15, v3
	v_lshl_or_b32 v3, v3, 3, v4
	v_and_or_b32 v24, v26, 7, v3
                                        ; implicit-def: $vgpr4
; %bb.928:                              ;   in Loop: Header=BB19_807 Depth=1
	s_andn2_saveexec_b64 s[0:1], s[0:1]
; %bb.929:                              ;   in Loop: Header=BB19_807 Depth=1
	v_pk_mov_b32 v[24:25], v[4:5], v[4:5] op_sel:[0,1]
; %bb.930:                              ;   in Loop: Header=BB19_807 Depth=1
	s_or_b64 exec, exec, s[0:1]
.LBB19_931:                             ;   in Loop: Header=BB19_807 Depth=1
	s_or_b64 exec, exec, s[16:17]
.LBB19_932:                             ;   in Loop: Header=BB19_807 Depth=1
	s_andn2_saveexec_b64 s[0:1], s[14:15]
	s_or_b64 exec, exec, s[0:1]
                                        ; implicit-def: $vgpr3
.LBB19_933:                             ;   in Loop: Header=BB19_807 Depth=1
	s_andn2_saveexec_b64 s[0:1], s[12:13]
	s_cbranch_execz .LBB19_806
; %bb.934:                              ;   in Loop: Header=BB19_807 Depth=1
	v_or_b32_sdwa v3, v3, s25 dst_sel:DWORD dst_unused:UNUSED_PAD src0_sel:BYTE_3 src1_sel:DWORD
	v_cmp_eq_u64_e32 vcc, 0, v[10:11]
	v_cndmask_b32_e32 v24, v3, v24, vcc
	s_branch .LBB19_806
.LBB19_935:
	s_or_b64 exec, exec, s[2:3]
.LBB19_936:
	s_and_b32 s0, s92, 15
	s_mov_b32 s1, 0
	s_cmp_lg_u64 s[0:1], 0
	s_cselect_b64 s[2:3], -1, 0
	s_xor_b64 s[4:5], s[38:39], -1
	s_or_b64 s[2:3], s[4:5], s[2:3]
	s_mov_b64 s[0:1], -1
	s_and_b64 vcc, exec, s[2:3]
	s_cbranch_vccz .LBB19_1112
; %bb.937:
	s_sub_i32 s0, 0, s92
	s_bfe_u32 s0, s0, 0x30001
	s_min_i32 s40, s0, s42
	v_cmp_gt_i32_e32 vcc, s40, v0
	s_and_saveexec_b64 s[2:3], vcc
	s_cbranch_execz .LBB19_956
; %bb.938:
	s_add_u32 s0, s62, s88
	v_mov_b32_e32 v3, 0
	v_lshlrev_b32_e32 v2, 1, v0
	s_addc_u32 s1, s63, s89
	s_mov_b32 s18, 0
	v_mov_b32_e32 v1, v3
	v_mov_b32_e32 v5, s1
	v_add_co_u32_e32 v4, vcc, s0, v2
	v_addc_co_u32_e32 v5, vcc, 0, v5, vcc
	s_lshl_b32 s19, s86, 1
	s_mov_b32 s20, s18
	s_mov_b64 s[4:5], 0
	s_movk_i32 s21, 0x80
	s_mov_b64 s[6:7], 0x7f800000
	s_mov_b64 s[8:9], 0x43e00001
	s_movk_i32 s22, 0x7a
	s_mov_b64 s[10:11], 0xffffff
	s_movk_i32 s23, 0x7f
	v_mov_b32_e32 v10, 0xffffff82
	v_mov_b32_e32 v11, 0x78
	v_pk_mov_b32 v[6:7], v[0:1], v[0:1] op_sel:[0,1]
	s_branch .LBB19_940
.LBB19_939:                             ;   in Loop: Header=BB19_940 Depth=1
	s_or_b64 exec, exec, s[0:1]
	v_mov_b32_e32 v1, s35
	v_add_co_u32_e32 v12, vcc, s34, v6
	v_addc_co_u32_e32 v13, vcc, v1, v7, vcc
	v_mov_b32_e32 v1, s18
	v_add_co_u32_e32 v6, vcc, s86, v6
	v_addc_co_u32_e32 v7, vcc, v7, v1, vcc
	v_cmp_le_i32_e32 vcc, s40, v6
	v_mov_b32_e32 v1, s20
	s_or_b64 s[4:5], vcc, s[4:5]
	v_add_co_u32_e32 v4, vcc, s19, v4
	v_addc_co_u32_e32 v5, vcc, v5, v1, vcc
	global_store_byte v[12:13], v9, off
	s_andn2_b64 exec, exec, s[4:5]
	s_cbranch_execz .LBB19_956
.LBB19_940:                             ; =>This Inner Loop Header: Depth=1
	global_load_ushort v1, v[4:5], off
	v_mov_b32_e32 v13, v3
	s_waitcnt vmcnt(0)
	v_lshlrev_b32_e32 v1, 16, v1
	v_div_scale_f32 v2, s[0:1], s33, s33, v1
	v_rcp_f32_e32 v8, v2
	v_div_scale_f32 v9, vcc, v1, s33, v1
	v_fma_f32 v12, -v2, v8, 1.0
	v_fmac_f32_e32 v8, v12, v8
	v_mul_f32_e32 v12, v9, v8
	v_fma_f32 v14, -v2, v12, v9
	v_fmac_f32_e32 v12, v14, v8
	v_fma_f32 v2, -v2, v12, v9
	v_div_fmas_f32 v2, v2, v8, v12
	v_div_fixup_f32 v8, v2, s33, v1
	v_and_b32_sdwa v1, v8, s21 dst_sel:DWORD dst_unused:UNUSED_PAD src0_sel:BYTE_3 src1_sel:DWORD
	v_and_b32_e32 v12, 0x7f800000, v8
	v_and_b32_e32 v2, 0x7fffff, v8
	v_or_b32_e32 v9, 0x7e, v1
	v_cmp_ne_u64_e32 vcc, s[6:7], v[12:13]
	s_and_saveexec_b64 s[0:1], vcc
	s_xor_b64 s[12:13], exec, s[0:1]
	s_cbranch_execz .LBB19_954
; %bb.941:                              ;   in Loop: Header=BB19_940 Depth=1
	v_and_b32_e32 v12, 0x7fffffff, v8
	v_mov_b32_e32 v13, v3
	v_cmp_gt_u64_e32 vcc, s[8:9], v[12:13]
	s_and_saveexec_b64 s[0:1], vcc
	s_xor_b64 s[14:15], exec, s[0:1]
	s_cbranch_execz .LBB19_953
; %bb.942:                              ;   in Loop: Header=BB19_940 Depth=1
	v_cmp_ne_u32_e32 vcc, 0, v8
	v_mov_b32_e32 v9, 0
	s_and_saveexec_b64 s[16:17], vcc
	s_cbranch_execz .LBB19_952
; %bb.943:                              ;   in Loop: Header=BB19_940 Depth=1
	v_bfe_u32 v8, v8, 23, 8
	v_sub_u32_e32 v12, 0x79, v8
	v_cmp_gt_u32_e32 vcc, s22, v8
	v_cndmask_b32_e32 v12, 0, v12, vcc
	v_cmp_eq_u32_e32 vcc, 0, v8
	v_cndmask_b32_e32 v12, v12, v11, vcc
	v_add_u32_e32 v9, 0xffffff81, v8
	v_or_b32_e32 v13, 0x800000, v2
	v_add_u32_e32 v8, 20, v12
	v_cndmask_b32_e32 v18, v9, v10, vcc
	v_cndmask_b32_e32 v2, v13, v2, vcc
	v_lshlrev_b64 v[8:9], v8, -1
	v_not_b32_e32 v8, v8
	v_lshrrev_b64 v[16:17], v12, v[2:3]
	v_not_b32_e32 v9, v9
	v_and_b32_e32 v8, v2, v8
	v_add_u32_e32 v13, 19, v12
	v_lshrrev_b32_e32 v2, 23, v16
	v_and_b32_e32 v9, 0, v9
	v_lshlrev_b64 v[14:15], v13, 1
	v_add3_u32 v13, v12, v18, v2
	v_bfe_u32 v2, v16, 20, 1
	v_add_u32_e32 v2, -1, v2
	v_cmp_eq_u64_e32 vcc, v[8:9], v[14:15]
	v_cndmask_b32_e32 v2, 0, v2, vcc
	v_add_u32_e32 v2, v2, v16
	v_and_b32_e32 v2, 0xfffff, v2
	v_add_co_u32_e32 v8, vcc, v2, v16
	v_add_u32_e32 v12, 6, v13
	v_addc_co_u32_e32 v9, vcc, 0, v17, vcc
	v_cmp_ne_u32_e32 vcc, 0, v12
                                        ; implicit-def: $vgpr2
	s_and_saveexec_b64 s[0:1], vcc
	s_xor_b64 s[0:1], exec, s[0:1]
; %bb.944:                              ;   in Loop: Header=BB19_940 Depth=1
	v_add_u32_e32 v2, 7, v13
	v_cmp_lt_u64_e32 vcc, s[10:11], v[8:9]
	v_cndmask_b32_e32 v2, v12, v2, vcc
	v_cndmask_b32_e64 v12, 0, 1, vcc
	v_lshrrev_b64 v[8:9], v12, v[8:9]
; %bb.945:                              ;   in Loop: Header=BB19_940 Depth=1
	s_andn2_saveexec_b64 s[0:1], s[0:1]
; %bb.946:                              ;   in Loop: Header=BB19_940 Depth=1
	v_bfe_u32 v2, v8, 23, 1
; %bb.947:                              ;   in Loop: Header=BB19_940 Depth=1
	s_or_b64 exec, exec, s[0:1]
	v_lshrrev_b64 v[8:9], 20, v[8:9]
	v_cmp_gt_i32_e32 vcc, 16, v2
	v_cndmask_b32_e32 v9, 0, v9, vcc
	v_cndmask_b32_e32 v8, 7, v8, vcc
	v_cmp_ne_u32_e32 vcc, 0, v2
	v_cmp_ne_u64_e64 s[0:1], 0, v[8:9]
	s_or_b64 s[0:1], vcc, s[0:1]
                                        ; implicit-def: $vgpr9
	s_and_saveexec_b64 s[24:25], s[0:1]
	s_xor_b64 s[0:1], exec, s[24:25]
; %bb.948:                              ;   in Loop: Header=BB19_940 Depth=1
	v_min_i32_e32 v2, 15, v2
	v_lshl_or_b32 v1, v2, 3, v1
	v_and_or_b32 v9, v8, 7, v1
                                        ; implicit-def: $vgpr1
; %bb.949:                              ;   in Loop: Header=BB19_940 Depth=1
	s_andn2_saveexec_b64 s[0:1], s[0:1]
; %bb.950:                              ;   in Loop: Header=BB19_940 Depth=1
	v_mov_b32_e32 v9, v1
; %bb.951:                              ;   in Loop: Header=BB19_940 Depth=1
	s_or_b64 exec, exec, s[0:1]
.LBB19_952:                             ;   in Loop: Header=BB19_940 Depth=1
	s_or_b64 exec, exec, s[16:17]
.LBB19_953:                             ;   in Loop: Header=BB19_940 Depth=1
	s_andn2_saveexec_b64 s[0:1], s[14:15]
	s_or_b64 exec, exec, s[0:1]
                                        ; implicit-def: $vgpr8
.LBB19_954:                             ;   in Loop: Header=BB19_940 Depth=1
	s_andn2_saveexec_b64 s[0:1], s[12:13]
	s_cbranch_execz .LBB19_939
; %bb.955:                              ;   in Loop: Header=BB19_940 Depth=1
	v_or_b32_sdwa v1, v8, s23 dst_sel:DWORD dst_unused:UNUSED_PAD src0_sel:BYTE_3 src1_sel:DWORD
	v_cmp_eq_u64_e32 vcc, 0, v[2:3]
	v_cndmask_b32_e32 v9, v1, v9, vcc
	s_branch .LBB19_939
.LBB19_956:
	s_or_b64 exec, exec, s[2:3]
	s_sub_i32 s43, s42, s40
	s_ashr_i32 s0, s43, 31
	s_lshr_b32 s0, s0, 29
	s_add_i32 s0, s43, s0
	s_ashr_i32 s18, s0, 3
	s_ashr_i32 s41, s40, 31
	v_cmp_gt_i32_e32 vcc, s18, v0
	s_and_saveexec_b64 s[2:3], vcc
	s_cbranch_execz .LBB19_1087
; %bb.957:
	s_add_u32 s0, s40, s94
	s_addc_u32 s1, s41, s87
	s_add_u32 s0, s0, s58
	s_addc_u32 s1, s1, s91
	s_add_u32 s0, s66, s0
	v_lshlrev_b32_e32 v1, 3, v0
	s_addc_u32 s1, s67, s1
	v_mov_b32_e32 v2, s1
	v_add_co_u32_e32 v6, vcc, s0, v1
	s_lshl_b32 s20, s86, 3
	s_lshl_b64 s[0:1], s[40:41], 1
	s_add_u32 s0, s62, s0
	s_addc_u32 s1, s63, s1
	s_add_u32 s0, s0, s88
	v_addc_co_u32_e32 v7, vcc, 0, v2, vcc
	v_lshlrev_b32_e32 v1, 4, v0
	s_addc_u32 s1, s1, s89
	s_mov_b32 s19, 0
	v_mov_b32_e32 v2, s1
	v_add_co_u32_e32 v8, vcc, s0, v1
	v_addc_co_u32_e32 v9, vcc, 0, v2, vcc
	s_lshl_b32 s21, s86, 4
	s_mov_b32 s22, s19
	s_mov_b64 s[4:5], 0
	v_mov_b32_e32 v11, 0
	s_movk_i32 s23, 0x80
	s_mov_b64 s[6:7], 0x7f800000
	s_mov_b64 s[8:9], 0x43e00001
	s_movk_i32 s24, 0x7a
	s_mov_b64 s[10:11], 0xffffff
	s_movk_i32 s25, 0x7f
	s_mov_b32 s26, 0xff00
	s_mov_b32 s27, 0x4020c0c
	v_mov_b32_e32 v1, 0xffffff82
	v_mov_b32_e32 v28, 0x78
	;; [unrolled: 1-line block ×3, first 2 shown]
	s_branch .LBB19_959
.LBB19_958:                             ;   in Loop: Header=BB19_959 Depth=1
	s_or_b64 exec, exec, s[0:1]
	v_lshlrev_b32_e32 v4, 16, v22
	v_lshlrev_b32_e32 v3, 24, v24
	v_and_b32_e32 v4, 0xff0000, v4
	v_or_b32_e32 v3, v3, v4
	v_lshlrev_b32_e32 v4, 8, v20
	v_and_b32_e32 v4, 0xff00, v4
	v_and_b32_e32 v5, 0xff, v18
	v_or3_b32 v3, v3, v4, v5
	v_lshlrev_b32_e32 v4, 16, v16
	v_lshlrev_b32_e32 v5, 8, v14
	v_perm_b32 v2, v2, v4, s27
	v_and_or_b32 v2, v5, s26, v2
	v_or_b32_sdwa v2, v2, v12 dst_sel:DWORD dst_unused:UNUSED_PAD src0_sel:DWORD src1_sel:BYTE_0
	global_store_dwordx2 v[6:7], v[2:3], off
	v_mov_b32_e32 v2, s19
	v_add_co_u32_e32 v6, vcc, s20, v6
	v_add_u32_e32 v29, s86, v29
	v_addc_co_u32_e32 v7, vcc, v7, v2, vcc
	v_cmp_le_i32_e32 vcc, s18, v29
	v_mov_b32_e32 v2, s22
	s_or_b64 s[4:5], vcc, s[4:5]
	v_add_co_u32_e32 v8, vcc, s21, v8
	v_addc_co_u32_e32 v9, vcc, v9, v2, vcc
	s_andn2_b64 exec, exec, s[4:5]
	s_cbranch_execz .LBB19_1087
.LBB19_959:                             ; =>This Inner Loop Header: Depth=1
	global_load_dwordx4 v[2:5], v[8:9], off
	v_mov_b32_e32 v17, v11
	s_waitcnt vmcnt(0)
	v_lshlrev_b32_e32 v10, 16, v2
	v_div_scale_f32 v12, s[0:1], s33, s33, v10
	v_rcp_f32_e32 v13, v12
	v_div_scale_f32 v14, vcc, v10, s33, v10
	v_fma_f32 v15, -v12, v13, 1.0
	v_fmac_f32_e32 v13, v15, v13
	v_mul_f32_e32 v15, v14, v13
	v_fma_f32 v16, -v12, v15, v14
	v_fmac_f32_e32 v15, v16, v13
	v_fma_f32 v12, -v12, v15, v14
	v_div_fmas_f32 v12, v12, v13, v15
	v_div_fixup_f32 v15, v12, s33, v10
	v_and_b32_sdwa v14, v15, s23 dst_sel:DWORD dst_unused:UNUSED_PAD src0_sel:BYTE_3 src1_sel:DWORD
	v_and_b32_e32 v16, 0x7f800000, v15
	v_and_b32_e32 v10, 0x7fffff, v15
	v_or_b32_e32 v12, 0x7e, v14
	v_cmp_ne_u64_e32 vcc, s[6:7], v[16:17]
	s_and_saveexec_b64 s[0:1], vcc
	s_xor_b64 s[12:13], exec, s[0:1]
	s_cbranch_execz .LBB19_973
; %bb.960:                              ;   in Loop: Header=BB19_959 Depth=1
	v_and_b32_e32 v16, 0x7fffffff, v15
	v_mov_b32_e32 v17, v11
	v_cmp_gt_u64_e32 vcc, s[8:9], v[16:17]
	s_and_saveexec_b64 s[0:1], vcc
	s_xor_b64 s[14:15], exec, s[0:1]
	s_cbranch_execz .LBB19_972
; %bb.961:                              ;   in Loop: Header=BB19_959 Depth=1
	v_cmp_ne_u32_e32 vcc, 0, v15
	v_pk_mov_b32 v[12:13], 0, 0
	s_and_saveexec_b64 s[16:17], vcc
	s_cbranch_execz .LBB19_971
; %bb.962:                              ;   in Loop: Header=BB19_959 Depth=1
	v_bfe_u32 v12, v15, 23, 8
	v_sub_u32_e32 v15, 0x79, v12
	v_cmp_gt_u32_e32 vcc, s24, v12
	v_cndmask_b32_e32 v15, 0, v15, vcc
	v_cmp_eq_u32_e32 vcc, 0, v12
	v_cndmask_b32_e32 v15, v15, v28, vcc
	v_add_u32_e32 v13, 0xffffff81, v12
	v_or_b32_e32 v16, 0x800000, v10
	v_add_u32_e32 v12, 20, v15
	v_cndmask_b32_e32 v17, v13, v1, vcc
	v_cndmask_b32_e32 v10, v16, v10, vcc
	v_lshlrev_b64 v[12:13], v12, -1
	v_not_b32_e32 v12, v12
	v_lshrrev_b64 v[20:21], v15, v[10:11]
	v_not_b32_e32 v13, v13
	v_and_b32_e32 v12, v10, v12
	v_add_u32_e32 v16, 19, v15
	v_lshrrev_b32_e32 v10, 23, v20
	v_and_b32_e32 v13, 0, v13
	v_lshlrev_b64 v[18:19], v16, 1
	v_add3_u32 v16, v15, v17, v10
	v_bfe_u32 v10, v20, 20, 1
	v_add_u32_e32 v10, -1, v10
	v_cmp_eq_u64_e32 vcc, v[12:13], v[18:19]
	v_cndmask_b32_e32 v10, 0, v10, vcc
	v_add_u32_e32 v10, v10, v20
	v_and_b32_e32 v10, 0xfffff, v10
	v_add_co_u32_e32 v12, vcc, v10, v20
	v_add_u32_e32 v15, 6, v16
	v_addc_co_u32_e32 v13, vcc, 0, v21, vcc
	v_cmp_ne_u32_e32 vcc, 0, v15
                                        ; implicit-def: $vgpr10
	s_and_saveexec_b64 s[0:1], vcc
	s_xor_b64 s[0:1], exec, s[0:1]
; %bb.963:                              ;   in Loop: Header=BB19_959 Depth=1
	v_add_u32_e32 v10, 7, v16
	v_cmp_lt_u64_e32 vcc, s[10:11], v[12:13]
	v_cndmask_b32_e32 v10, v15, v10, vcc
	v_cndmask_b32_e64 v15, 0, 1, vcc
	v_lshrrev_b64 v[12:13], v15, v[12:13]
; %bb.964:                              ;   in Loop: Header=BB19_959 Depth=1
	s_andn2_saveexec_b64 s[0:1], s[0:1]
; %bb.965:                              ;   in Loop: Header=BB19_959 Depth=1
	v_bfe_u32 v10, v12, 23, 1
; %bb.966:                              ;   in Loop: Header=BB19_959 Depth=1
	s_or_b64 exec, exec, s[0:1]
	v_lshrrev_b64 v[12:13], 20, v[12:13]
	v_cmp_gt_i32_e32 vcc, 16, v10
	v_cndmask_b32_e32 v17, 0, v13, vcc
	v_cndmask_b32_e32 v16, 7, v12, vcc
	v_cmp_ne_u32_e32 vcc, 0, v10
	v_cmp_ne_u64_e64 s[0:1], 0, v[16:17]
	s_or_b64 s[0:1], vcc, s[0:1]
                                        ; implicit-def: $vgpr12_vgpr13
	s_and_saveexec_b64 s[28:29], s[0:1]
	s_xor_b64 s[0:1], exec, s[28:29]
; %bb.967:                              ;   in Loop: Header=BB19_959 Depth=1
	v_min_i32_e32 v10, 15, v10
	v_lshl_or_b32 v10, v10, 3, v14
	v_and_or_b32 v12, v16, 7, v10
                                        ; implicit-def: $vgpr14
; %bb.968:                              ;   in Loop: Header=BB19_959 Depth=1
	s_andn2_saveexec_b64 s[0:1], s[0:1]
; %bb.969:                              ;   in Loop: Header=BB19_959 Depth=1
	v_pk_mov_b32 v[12:13], v[14:15], v[14:15] op_sel:[0,1]
; %bb.970:                              ;   in Loop: Header=BB19_959 Depth=1
	s_or_b64 exec, exec, s[0:1]
.LBB19_971:                             ;   in Loop: Header=BB19_959 Depth=1
	s_or_b64 exec, exec, s[16:17]
.LBB19_972:                             ;   in Loop: Header=BB19_959 Depth=1
	s_andn2_saveexec_b64 s[0:1], s[14:15]
	s_or_b64 exec, exec, s[0:1]
                                        ; implicit-def: $vgpr15
.LBB19_973:                             ;   in Loop: Header=BB19_959 Depth=1
	s_andn2_saveexec_b64 s[0:1], s[12:13]
; %bb.974:                              ;   in Loop: Header=BB19_959 Depth=1
	v_or_b32_sdwa v13, v15, s25 dst_sel:DWORD dst_unused:UNUSED_PAD src0_sel:BYTE_3 src1_sel:DWORD
	v_cmp_eq_u64_e32 vcc, 0, v[10:11]
	v_cndmask_b32_e32 v12, v13, v12, vcc
; %bb.975:                              ;   in Loop: Header=BB19_959 Depth=1
	s_or_b64 exec, exec, s[0:1]
	v_and_b32_e32 v2, 0xffff0000, v2
	v_div_scale_f32 v10, s[0:1], s33, s33, v2
	v_rcp_f32_e32 v13, v10
	v_div_scale_f32 v14, vcc, v2, s33, v2
	v_mov_b32_e32 v17, v11
	v_fma_f32 v15, -v10, v13, 1.0
	v_fmac_f32_e32 v13, v15, v13
	v_mul_f32_e32 v15, v14, v13
	v_fma_f32 v16, -v10, v15, v14
	v_fmac_f32_e32 v15, v16, v13
	v_fma_f32 v10, -v10, v15, v14
	v_div_fmas_f32 v10, v10, v13, v15
	v_div_fixup_f32 v13, v10, s33, v2
	v_and_b32_sdwa v2, v13, s23 dst_sel:DWORD dst_unused:UNUSED_PAD src0_sel:BYTE_3 src1_sel:DWORD
	v_and_b32_e32 v16, 0x7f800000, v13
	v_and_b32_e32 v10, 0x7fffff, v13
	v_or_b32_e32 v14, 0x7e, v2
	v_cmp_ne_u64_e32 vcc, s[6:7], v[16:17]
	s_and_saveexec_b64 s[0:1], vcc
	s_xor_b64 s[12:13], exec, s[0:1]
	s_cbranch_execz .LBB19_989
; %bb.976:                              ;   in Loop: Header=BB19_959 Depth=1
	v_and_b32_e32 v16, 0x7fffffff, v13
	v_mov_b32_e32 v17, v11
	v_cmp_gt_u64_e32 vcc, s[8:9], v[16:17]
	s_and_saveexec_b64 s[0:1], vcc
	s_xor_b64 s[14:15], exec, s[0:1]
	s_cbranch_execz .LBB19_988
; %bb.977:                              ;   in Loop: Header=BB19_959 Depth=1
	v_cmp_ne_u32_e32 vcc, 0, v13
	v_pk_mov_b32 v[14:15], 0, 0
	s_and_saveexec_b64 s[16:17], vcc
	s_cbranch_execz .LBB19_987
; %bb.978:                              ;   in Loop: Header=BB19_959 Depth=1
	v_bfe_u32 v13, v13, 23, 8
	v_sub_u32_e32 v15, 0x79, v13
	v_cmp_gt_u32_e32 vcc, s24, v13
	v_cndmask_b32_e32 v15, 0, v15, vcc
	v_cmp_eq_u32_e32 vcc, 0, v13
	v_add_u32_e32 v14, 0xffffff81, v13
	v_cndmask_b32_e32 v17, v15, v28, vcc
	v_or_b32_e32 v16, 0x800000, v10
	v_cndmask_b32_e32 v13, v14, v1, vcc
	v_add_u32_e32 v14, 20, v17
	v_cndmask_b32_e32 v10, v16, v10, vcc
	v_lshlrev_b64 v[14:15], v14, -1
	v_not_b32_e32 v14, v14
	v_lshrrev_b64 v[20:21], v17, v[10:11]
	v_not_b32_e32 v15, v15
	v_and_b32_e32 v14, v10, v14
	v_add_u32_e32 v16, 19, v17
	v_lshrrev_b32_e32 v10, 23, v20
	v_and_b32_e32 v15, 0, v15
	v_lshlrev_b64 v[18:19], v16, 1
	v_add3_u32 v16, v17, v13, v10
	v_bfe_u32 v10, v20, 20, 1
	v_add_u32_e32 v10, -1, v10
	v_cmp_eq_u64_e32 vcc, v[14:15], v[18:19]
	v_cndmask_b32_e32 v10, 0, v10, vcc
	v_add_u32_e32 v10, v10, v20
	v_and_b32_e32 v10, 0xfffff, v10
	v_add_co_u32_e32 v14, vcc, v10, v20
	v_add_u32_e32 v13, 6, v16
	v_addc_co_u32_e32 v15, vcc, 0, v21, vcc
	v_cmp_ne_u32_e32 vcc, 0, v13
                                        ; implicit-def: $vgpr10
	s_and_saveexec_b64 s[0:1], vcc
	s_xor_b64 s[0:1], exec, s[0:1]
; %bb.979:                              ;   in Loop: Header=BB19_959 Depth=1
	v_add_u32_e32 v10, 7, v16
	v_cmp_lt_u64_e32 vcc, s[10:11], v[14:15]
	v_cndmask_b32_e32 v10, v13, v10, vcc
	v_cndmask_b32_e64 v13, 0, 1, vcc
	v_lshrrev_b64 v[14:15], v13, v[14:15]
; %bb.980:                              ;   in Loop: Header=BB19_959 Depth=1
	s_andn2_saveexec_b64 s[0:1], s[0:1]
; %bb.981:                              ;   in Loop: Header=BB19_959 Depth=1
	v_bfe_u32 v10, v14, 23, 1
; %bb.982:                              ;   in Loop: Header=BB19_959 Depth=1
	s_or_b64 exec, exec, s[0:1]
	v_lshrrev_b64 v[14:15], 20, v[14:15]
	v_cmp_gt_i32_e32 vcc, 16, v10
	v_cndmask_b32_e32 v17, 0, v15, vcc
	v_cndmask_b32_e32 v16, 7, v14, vcc
	v_cmp_ne_u32_e32 vcc, 0, v10
	v_cmp_ne_u64_e64 s[0:1], 0, v[16:17]
	s_or_b64 s[0:1], vcc, s[0:1]
                                        ; implicit-def: $vgpr14_vgpr15
	s_and_saveexec_b64 s[28:29], s[0:1]
	s_xor_b64 s[0:1], exec, s[28:29]
; %bb.983:                              ;   in Loop: Header=BB19_959 Depth=1
	v_min_i32_e32 v10, 15, v10
	v_lshl_or_b32 v2, v10, 3, v2
	v_and_or_b32 v14, v16, 7, v2
                                        ; implicit-def: $vgpr2
; %bb.984:                              ;   in Loop: Header=BB19_959 Depth=1
	s_andn2_saveexec_b64 s[0:1], s[0:1]
; %bb.985:                              ;   in Loop: Header=BB19_959 Depth=1
	v_pk_mov_b32 v[14:15], v[2:3], v[2:3] op_sel:[0,1]
; %bb.986:                              ;   in Loop: Header=BB19_959 Depth=1
	s_or_b64 exec, exec, s[0:1]
.LBB19_987:                             ;   in Loop: Header=BB19_959 Depth=1
	s_or_b64 exec, exec, s[16:17]
.LBB19_988:                             ;   in Loop: Header=BB19_959 Depth=1
	s_andn2_saveexec_b64 s[0:1], s[14:15]
	s_or_b64 exec, exec, s[0:1]
                                        ; implicit-def: $vgpr13
.LBB19_989:                             ;   in Loop: Header=BB19_959 Depth=1
	s_andn2_saveexec_b64 s[0:1], s[12:13]
; %bb.990:                              ;   in Loop: Header=BB19_959 Depth=1
	v_or_b32_sdwa v2, v13, s25 dst_sel:DWORD dst_unused:UNUSED_PAD src0_sel:BYTE_3 src1_sel:DWORD
	v_cmp_eq_u64_e32 vcc, 0, v[10:11]
	v_cndmask_b32_e32 v14, v2, v14, vcc
; %bb.991:                              ;   in Loop: Header=BB19_959 Depth=1
	s_or_b64 exec, exec, s[0:1]
	v_lshlrev_b32_e32 v2, 16, v3
	v_div_scale_f32 v10, s[0:1], s33, s33, v2
	v_rcp_f32_e32 v13, v10
	v_div_scale_f32 v15, vcc, v2, s33, v2
	v_mov_b32_e32 v19, v11
	v_fma_f32 v16, -v10, v13, 1.0
	v_fmac_f32_e32 v13, v16, v13
	v_mul_f32_e32 v16, v15, v13
	v_fma_f32 v17, -v10, v16, v15
	v_fmac_f32_e32 v16, v17, v13
	v_fma_f32 v10, -v10, v16, v15
	v_div_fmas_f32 v10, v10, v13, v16
	v_div_fixup_f32 v13, v10, s33, v2
	v_and_b32_sdwa v2, v13, s23 dst_sel:DWORD dst_unused:UNUSED_PAD src0_sel:BYTE_3 src1_sel:DWORD
	v_and_b32_e32 v18, 0x7f800000, v13
	v_and_b32_e32 v10, 0x7fffff, v13
	v_or_b32_e32 v16, 0x7e, v2
	v_cmp_ne_u64_e32 vcc, s[6:7], v[18:19]
	s_and_saveexec_b64 s[0:1], vcc
	s_xor_b64 s[12:13], exec, s[0:1]
	s_cbranch_execz .LBB19_1005
; %bb.992:                              ;   in Loop: Header=BB19_959 Depth=1
	v_and_b32_e32 v18, 0x7fffffff, v13
	v_mov_b32_e32 v19, v11
	v_cmp_gt_u64_e32 vcc, s[8:9], v[18:19]
	s_and_saveexec_b64 s[0:1], vcc
	s_xor_b64 s[14:15], exec, s[0:1]
	s_cbranch_execz .LBB19_1004
; %bb.993:                              ;   in Loop: Header=BB19_959 Depth=1
	v_cmp_ne_u32_e32 vcc, 0, v13
	v_pk_mov_b32 v[16:17], 0, 0
	s_and_saveexec_b64 s[16:17], vcc
	s_cbranch_execz .LBB19_1003
; %bb.994:                              ;   in Loop: Header=BB19_959 Depth=1
	v_bfe_u32 v13, v13, 23, 8
	v_sub_u32_e32 v16, 0x79, v13
	v_cmp_gt_u32_e32 vcc, s24, v13
	v_add_u32_e32 v15, 0xffffff81, v13
	v_cndmask_b32_e32 v16, 0, v16, vcc
	v_cmp_eq_u32_e32 vcc, 0, v13
	v_cndmask_b32_e32 v13, v15, v1, vcc
	v_cndmask_b32_e32 v15, v16, v28, vcc
	v_or_b32_e32 v17, 0x800000, v10
	v_add_u32_e32 v16, 20, v15
	v_cndmask_b32_e32 v10, v17, v10, vcc
	v_lshlrev_b64 v[16:17], v16, -1
	v_not_b32_e32 v16, v16
	v_lshrrev_b64 v[20:21], v15, v[10:11]
	v_not_b32_e32 v17, v17
	v_and_b32_e32 v16, v10, v16
	v_add_u32_e32 v18, 19, v15
	v_lshrrev_b32_e32 v10, 23, v20
	v_and_b32_e32 v17, 0, v17
	v_lshlrev_b64 v[18:19], v18, 1
	v_add3_u32 v15, v15, v13, v10
	v_bfe_u32 v10, v20, 20, 1
	v_add_u32_e32 v10, -1, v10
	v_cmp_eq_u64_e32 vcc, v[16:17], v[18:19]
	v_cndmask_b32_e32 v10, 0, v10, vcc
	v_add_u32_e32 v10, v10, v20
	v_and_b32_e32 v10, 0xfffff, v10
	v_add_co_u32_e32 v16, vcc, v10, v20
	v_add_u32_e32 v13, 6, v15
	v_addc_co_u32_e32 v17, vcc, 0, v21, vcc
	v_cmp_ne_u32_e32 vcc, 0, v13
                                        ; implicit-def: $vgpr10
	s_and_saveexec_b64 s[0:1], vcc
	s_xor_b64 s[0:1], exec, s[0:1]
; %bb.995:                              ;   in Loop: Header=BB19_959 Depth=1
	v_add_u32_e32 v10, 7, v15
	v_cmp_lt_u64_e32 vcc, s[10:11], v[16:17]
	v_cndmask_b32_e32 v10, v13, v10, vcc
	v_cndmask_b32_e64 v13, 0, 1, vcc
	v_lshrrev_b64 v[16:17], v13, v[16:17]
; %bb.996:                              ;   in Loop: Header=BB19_959 Depth=1
	s_andn2_saveexec_b64 s[0:1], s[0:1]
; %bb.997:                              ;   in Loop: Header=BB19_959 Depth=1
	v_bfe_u32 v10, v16, 23, 1
; %bb.998:                              ;   in Loop: Header=BB19_959 Depth=1
	s_or_b64 exec, exec, s[0:1]
	v_lshrrev_b64 v[16:17], 20, v[16:17]
	v_cmp_gt_i32_e32 vcc, 16, v10
	v_cndmask_b32_e32 v19, 0, v17, vcc
	v_cndmask_b32_e32 v18, 7, v16, vcc
	v_cmp_ne_u32_e32 vcc, 0, v10
	v_cmp_ne_u64_e64 s[0:1], 0, v[18:19]
	s_or_b64 s[0:1], vcc, s[0:1]
                                        ; implicit-def: $vgpr16_vgpr17
	s_and_saveexec_b64 s[28:29], s[0:1]
	s_xor_b64 s[0:1], exec, s[28:29]
; %bb.999:                              ;   in Loop: Header=BB19_959 Depth=1
	v_min_i32_e32 v10, 15, v10
	v_lshl_or_b32 v2, v10, 3, v2
	v_and_or_b32 v16, v18, 7, v2
                                        ; implicit-def: $vgpr2
; %bb.1000:                             ;   in Loop: Header=BB19_959 Depth=1
	s_andn2_saveexec_b64 s[0:1], s[0:1]
; %bb.1001:                             ;   in Loop: Header=BB19_959 Depth=1
	v_pk_mov_b32 v[16:17], v[2:3], v[2:3] op_sel:[0,1]
; %bb.1002:                             ;   in Loop: Header=BB19_959 Depth=1
	s_or_b64 exec, exec, s[0:1]
.LBB19_1003:                            ;   in Loop: Header=BB19_959 Depth=1
	s_or_b64 exec, exec, s[16:17]
.LBB19_1004:                            ;   in Loop: Header=BB19_959 Depth=1
	s_andn2_saveexec_b64 s[0:1], s[14:15]
	s_or_b64 exec, exec, s[0:1]
                                        ; implicit-def: $vgpr13
.LBB19_1005:                            ;   in Loop: Header=BB19_959 Depth=1
	s_andn2_saveexec_b64 s[0:1], s[12:13]
; %bb.1006:                             ;   in Loop: Header=BB19_959 Depth=1
	v_or_b32_sdwa v2, v13, s25 dst_sel:DWORD dst_unused:UNUSED_PAD src0_sel:BYTE_3 src1_sel:DWORD
	v_cmp_eq_u64_e32 vcc, 0, v[10:11]
	v_cndmask_b32_e32 v16, v2, v16, vcc
; %bb.1007:                             ;   in Loop: Header=BB19_959 Depth=1
	s_or_b64 exec, exec, s[0:1]
	v_and_b32_e32 v2, 0xffff0000, v3
	v_div_scale_f32 v3, s[0:1], s33, s33, v2
	v_rcp_f32_e32 v10, v3
	v_div_scale_f32 v13, vcc, v2, s33, v2
	v_mov_b32_e32 v21, v11
	v_fma_f32 v15, -v3, v10, 1.0
	v_fmac_f32_e32 v10, v15, v10
	v_mul_f32_e32 v15, v13, v10
	v_fma_f32 v17, -v3, v15, v13
	v_fmac_f32_e32 v15, v17, v10
	v_fma_f32 v3, -v3, v15, v13
	v_div_fmas_f32 v3, v3, v10, v15
	v_div_fixup_f32 v13, v3, s33, v2
	v_and_b32_sdwa v18, v13, s23 dst_sel:DWORD dst_unused:UNUSED_PAD src0_sel:BYTE_3 src1_sel:DWORD
	v_and_b32_e32 v20, 0x7f800000, v13
	v_and_b32_e32 v10, 0x7fffff, v13
	v_or_b32_e32 v2, 0x7e, v18
	v_cmp_ne_u64_e32 vcc, s[6:7], v[20:21]
	s_and_saveexec_b64 s[0:1], vcc
	s_xor_b64 s[12:13], exec, s[0:1]
	s_cbranch_execz .LBB19_1021
; %bb.1008:                             ;   in Loop: Header=BB19_959 Depth=1
	v_and_b32_e32 v20, 0x7fffffff, v13
	v_mov_b32_e32 v21, v11
	v_cmp_gt_u64_e32 vcc, s[8:9], v[20:21]
	s_and_saveexec_b64 s[0:1], vcc
	s_xor_b64 s[14:15], exec, s[0:1]
	s_cbranch_execz .LBB19_1020
; %bb.1009:                             ;   in Loop: Header=BB19_959 Depth=1
	v_cmp_ne_u32_e32 vcc, 0, v13
	v_pk_mov_b32 v[2:3], 0, 0
	s_and_saveexec_b64 s[16:17], vcc
	s_cbranch_execz .LBB19_1019
; %bb.1010:                             ;   in Loop: Header=BB19_959 Depth=1
	v_bfe_u32 v2, v13, 23, 8
	v_sub_u32_e32 v13, 0x79, v2
	v_cmp_gt_u32_e32 vcc, s24, v2
	v_cndmask_b32_e32 v13, 0, v13, vcc
	v_cmp_eq_u32_e32 vcc, 0, v2
	v_cndmask_b32_e32 v13, v13, v28, vcc
	v_add_u32_e32 v3, 0xffffff81, v2
	v_or_b32_e32 v15, 0x800000, v10
	v_add_u32_e32 v2, 20, v13
	v_cndmask_b32_e32 v17, v3, v1, vcc
	v_cndmask_b32_e32 v10, v15, v10, vcc
	v_lshlrev_b64 v[2:3], v2, -1
	v_not_b32_e32 v2, v2
	v_lshrrev_b64 v[22:23], v13, v[10:11]
	v_not_b32_e32 v3, v3
	v_and_b32_e32 v2, v10, v2
	v_add_u32_e32 v15, 19, v13
	v_lshrrev_b32_e32 v10, 23, v22
	v_and_b32_e32 v3, 0, v3
	v_lshlrev_b64 v[20:21], v15, 1
	v_add3_u32 v15, v13, v17, v10
	v_bfe_u32 v10, v22, 20, 1
	v_add_u32_e32 v10, -1, v10
	v_cmp_eq_u64_e32 vcc, v[2:3], v[20:21]
	v_cndmask_b32_e32 v2, 0, v10, vcc
	v_add_u32_e32 v2, v2, v22
	v_and_b32_e32 v2, 0xfffff, v2
	v_add_co_u32_e32 v2, vcc, v2, v22
	v_add_u32_e32 v13, 6, v15
	v_addc_co_u32_e32 v3, vcc, 0, v23, vcc
	v_cmp_ne_u32_e32 vcc, 0, v13
                                        ; implicit-def: $vgpr10
	s_and_saveexec_b64 s[0:1], vcc
	s_xor_b64 s[0:1], exec, s[0:1]
; %bb.1011:                             ;   in Loop: Header=BB19_959 Depth=1
	v_add_u32_e32 v10, 7, v15
	v_cmp_lt_u64_e32 vcc, s[10:11], v[2:3]
	v_cndmask_b32_e32 v10, v13, v10, vcc
	v_cndmask_b32_e64 v13, 0, 1, vcc
	v_lshrrev_b64 v[2:3], v13, v[2:3]
; %bb.1012:                             ;   in Loop: Header=BB19_959 Depth=1
	s_andn2_saveexec_b64 s[0:1], s[0:1]
; %bb.1013:                             ;   in Loop: Header=BB19_959 Depth=1
	v_bfe_u32 v10, v2, 23, 1
; %bb.1014:                             ;   in Loop: Header=BB19_959 Depth=1
	s_or_b64 exec, exec, s[0:1]
	v_lshrrev_b64 v[2:3], 20, v[2:3]
	v_cmp_gt_i32_e32 vcc, 16, v10
	v_cndmask_b32_e32 v21, 0, v3, vcc
	v_cndmask_b32_e32 v20, 7, v2, vcc
	v_cmp_ne_u32_e32 vcc, 0, v10
	v_cmp_ne_u64_e64 s[0:1], 0, v[20:21]
	s_or_b64 s[0:1], vcc, s[0:1]
                                        ; implicit-def: $vgpr2_vgpr3
	s_and_saveexec_b64 s[28:29], s[0:1]
	s_xor_b64 s[0:1], exec, s[28:29]
; %bb.1015:                             ;   in Loop: Header=BB19_959 Depth=1
	v_min_i32_e32 v2, 15, v10
	v_lshl_or_b32 v2, v2, 3, v18
	v_and_or_b32 v2, v20, 7, v2
                                        ; implicit-def: $vgpr18
; %bb.1016:                             ;   in Loop: Header=BB19_959 Depth=1
	s_andn2_saveexec_b64 s[0:1], s[0:1]
; %bb.1017:                             ;   in Loop: Header=BB19_959 Depth=1
	v_pk_mov_b32 v[2:3], v[18:19], v[18:19] op_sel:[0,1]
; %bb.1018:                             ;   in Loop: Header=BB19_959 Depth=1
	s_or_b64 exec, exec, s[0:1]
.LBB19_1019:                            ;   in Loop: Header=BB19_959 Depth=1
	s_or_b64 exec, exec, s[16:17]
.LBB19_1020:                            ;   in Loop: Header=BB19_959 Depth=1
	s_andn2_saveexec_b64 s[0:1], s[14:15]
	s_or_b64 exec, exec, s[0:1]
                                        ; implicit-def: $vgpr13
.LBB19_1021:                            ;   in Loop: Header=BB19_959 Depth=1
	s_andn2_saveexec_b64 s[0:1], s[12:13]
; %bb.1022:                             ;   in Loop: Header=BB19_959 Depth=1
	v_or_b32_sdwa v3, v13, s25 dst_sel:DWORD dst_unused:UNUSED_PAD src0_sel:BYTE_3 src1_sel:DWORD
	v_cmp_eq_u64_e32 vcc, 0, v[10:11]
	v_cndmask_b32_e32 v2, v3, v2, vcc
; %bb.1023:                             ;   in Loop: Header=BB19_959 Depth=1
	s_or_b64 exec, exec, s[0:1]
	v_lshlrev_b32_e32 v3, 16, v4
	v_div_scale_f32 v10, s[0:1], s33, s33, v3
	v_rcp_f32_e32 v13, v10
	v_div_scale_f32 v15, vcc, v3, s33, v3
	v_mov_b32_e32 v23, v11
	v_fma_f32 v17, -v10, v13, 1.0
	v_fmac_f32_e32 v13, v17, v13
	v_mul_f32_e32 v17, v15, v13
	v_fma_f32 v18, -v10, v17, v15
	v_fmac_f32_e32 v17, v18, v13
	v_fma_f32 v10, -v10, v17, v15
	v_div_fmas_f32 v10, v10, v13, v17
	v_div_fixup_f32 v3, v10, s33, v3
	v_and_b32_sdwa v20, v3, s23 dst_sel:DWORD dst_unused:UNUSED_PAD src0_sel:BYTE_3 src1_sel:DWORD
	v_and_b32_e32 v22, 0x7f800000, v3
	v_and_b32_e32 v10, 0x7fffff, v3
	v_or_b32_e32 v18, 0x7e, v20
	v_cmp_ne_u64_e32 vcc, s[6:7], v[22:23]
	s_and_saveexec_b64 s[0:1], vcc
	s_xor_b64 s[12:13], exec, s[0:1]
	s_cbranch_execz .LBB19_1037
; %bb.1024:                             ;   in Loop: Header=BB19_959 Depth=1
	v_and_b32_e32 v22, 0x7fffffff, v3
	v_mov_b32_e32 v23, v11
	v_cmp_gt_u64_e32 vcc, s[8:9], v[22:23]
	s_and_saveexec_b64 s[0:1], vcc
	s_xor_b64 s[14:15], exec, s[0:1]
	s_cbranch_execz .LBB19_1036
; %bb.1025:                             ;   in Loop: Header=BB19_959 Depth=1
	v_cmp_ne_u32_e32 vcc, 0, v3
	v_pk_mov_b32 v[18:19], 0, 0
	s_and_saveexec_b64 s[16:17], vcc
	s_cbranch_execz .LBB19_1035
; %bb.1026:                             ;   in Loop: Header=BB19_959 Depth=1
	v_bfe_u32 v3, v3, 23, 8
	v_sub_u32_e32 v15, 0x79, v3
	v_cmp_gt_u32_e32 vcc, s24, v3
	v_add_u32_e32 v13, 0xffffff81, v3
	v_cndmask_b32_e32 v15, 0, v15, vcc
	v_cmp_eq_u32_e32 vcc, 0, v3
	v_cndmask_b32_e32 v3, v13, v1, vcc
	v_cndmask_b32_e32 v13, v15, v28, vcc
	v_or_b32_e32 v17, 0x800000, v10
	v_add_u32_e32 v15, 20, v13
	v_cndmask_b32_e32 v10, v17, v10, vcc
	v_lshlrev_b64 v[18:19], v15, -1
	v_not_b32_e32 v15, v19
	v_not_b32_e32 v17, v18
	v_lshrrev_b64 v[24:25], v13, v[10:11]
	v_and_b32_e32 v19, 0, v15
	v_and_b32_e32 v18, v10, v17
	v_add_u32_e32 v15, 19, v13
	v_lshrrev_b32_e32 v10, 23, v24
	v_lshlrev_b64 v[22:23], v15, 1
	v_add3_u32 v13, v13, v3, v10
	v_bfe_u32 v3, v24, 20, 1
	v_add_u32_e32 v3, -1, v3
	v_cmp_eq_u64_e32 vcc, v[18:19], v[22:23]
	v_cndmask_b32_e32 v3, 0, v3, vcc
	v_add_u32_e32 v3, v3, v24
	v_and_b32_e32 v3, 0xfffff, v3
	v_add_co_u32_e32 v18, vcc, v3, v24
	v_add_u32_e32 v10, 6, v13
	v_addc_co_u32_e32 v19, vcc, 0, v25, vcc
	v_cmp_ne_u32_e32 vcc, 0, v10
                                        ; implicit-def: $vgpr3
	s_and_saveexec_b64 s[0:1], vcc
	s_xor_b64 s[0:1], exec, s[0:1]
; %bb.1027:                             ;   in Loop: Header=BB19_959 Depth=1
	v_add_u32_e32 v3, 7, v13
	v_cmp_lt_u64_e32 vcc, s[10:11], v[18:19]
	v_cndmask_b32_e32 v3, v10, v3, vcc
	v_cndmask_b32_e64 v10, 0, 1, vcc
	v_lshrrev_b64 v[18:19], v10, v[18:19]
; %bb.1028:                             ;   in Loop: Header=BB19_959 Depth=1
	s_andn2_saveexec_b64 s[0:1], s[0:1]
; %bb.1029:                             ;   in Loop: Header=BB19_959 Depth=1
	v_bfe_u32 v3, v18, 23, 1
; %bb.1030:                             ;   in Loop: Header=BB19_959 Depth=1
	s_or_b64 exec, exec, s[0:1]
	v_lshrrev_b64 v[18:19], 20, v[18:19]
	v_cmp_gt_i32_e32 vcc, 16, v3
	v_cndmask_b32_e32 v23, 0, v19, vcc
	v_cndmask_b32_e32 v22, 7, v18, vcc
	v_cmp_ne_u32_e32 vcc, 0, v3
	v_cmp_ne_u64_e64 s[0:1], 0, v[22:23]
	s_or_b64 s[0:1], vcc, s[0:1]
                                        ; implicit-def: $vgpr18_vgpr19
	s_and_saveexec_b64 s[28:29], s[0:1]
	s_xor_b64 s[0:1], exec, s[28:29]
; %bb.1031:                             ;   in Loop: Header=BB19_959 Depth=1
	v_min_i32_e32 v3, 15, v3
	v_lshl_or_b32 v3, v3, 3, v20
	v_and_or_b32 v18, v22, 7, v3
                                        ; implicit-def: $vgpr20
; %bb.1032:                             ;   in Loop: Header=BB19_959 Depth=1
	s_andn2_saveexec_b64 s[0:1], s[0:1]
; %bb.1033:                             ;   in Loop: Header=BB19_959 Depth=1
	v_pk_mov_b32 v[18:19], v[20:21], v[20:21] op_sel:[0,1]
; %bb.1034:                             ;   in Loop: Header=BB19_959 Depth=1
	s_or_b64 exec, exec, s[0:1]
.LBB19_1035:                            ;   in Loop: Header=BB19_959 Depth=1
	s_or_b64 exec, exec, s[16:17]
.LBB19_1036:                            ;   in Loop: Header=BB19_959 Depth=1
	s_andn2_saveexec_b64 s[0:1], s[14:15]
	s_or_b64 exec, exec, s[0:1]
                                        ; implicit-def: $vgpr3
.LBB19_1037:                            ;   in Loop: Header=BB19_959 Depth=1
	s_andn2_saveexec_b64 s[0:1], s[12:13]
; %bb.1038:                             ;   in Loop: Header=BB19_959 Depth=1
	v_or_b32_sdwa v3, v3, s25 dst_sel:DWORD dst_unused:UNUSED_PAD src0_sel:BYTE_3 src1_sel:DWORD
	v_cmp_eq_u64_e32 vcc, 0, v[10:11]
	v_cndmask_b32_e32 v18, v3, v18, vcc
; %bb.1039:                             ;   in Loop: Header=BB19_959 Depth=1
	s_or_b64 exec, exec, s[0:1]
	v_and_b32_e32 v3, 0xffff0000, v4
	v_div_scale_f32 v4, s[0:1], s33, s33, v3
	v_rcp_f32_e32 v10, v4
	v_div_scale_f32 v13, vcc, v3, s33, v3
	v_mov_b32_e32 v23, v11
	v_fma_f32 v15, -v4, v10, 1.0
	v_fmac_f32_e32 v10, v15, v10
	v_mul_f32_e32 v15, v13, v10
	v_fma_f32 v17, -v4, v15, v13
	v_fmac_f32_e32 v15, v17, v10
	v_fma_f32 v4, -v4, v15, v13
	v_div_fmas_f32 v4, v4, v10, v15
	v_div_fixup_f32 v3, v4, s33, v3
	v_and_b32_sdwa v4, v3, s23 dst_sel:DWORD dst_unused:UNUSED_PAD src0_sel:BYTE_3 src1_sel:DWORD
	v_and_b32_e32 v22, 0x7f800000, v3
	v_and_b32_e32 v10, 0x7fffff, v3
	v_or_b32_e32 v20, 0x7e, v4
	v_cmp_ne_u64_e32 vcc, s[6:7], v[22:23]
	s_and_saveexec_b64 s[0:1], vcc
	s_xor_b64 s[12:13], exec, s[0:1]
	s_cbranch_execz .LBB19_1053
; %bb.1040:                             ;   in Loop: Header=BB19_959 Depth=1
	v_and_b32_e32 v22, 0x7fffffff, v3
	v_mov_b32_e32 v23, v11
	v_cmp_gt_u64_e32 vcc, s[8:9], v[22:23]
	s_and_saveexec_b64 s[0:1], vcc
	s_xor_b64 s[14:15], exec, s[0:1]
	s_cbranch_execz .LBB19_1052
; %bb.1041:                             ;   in Loop: Header=BB19_959 Depth=1
	v_cmp_ne_u32_e32 vcc, 0, v3
	v_pk_mov_b32 v[20:21], 0, 0
	s_and_saveexec_b64 s[16:17], vcc
	s_cbranch_execz .LBB19_1051
; %bb.1042:                             ;   in Loop: Header=BB19_959 Depth=1
	v_bfe_u32 v3, v3, 23, 8
	v_sub_u32_e32 v15, 0x79, v3
	v_cmp_gt_u32_e32 vcc, s24, v3
	v_add_u32_e32 v13, 0xffffff81, v3
	v_cndmask_b32_e32 v15, 0, v15, vcc
	v_cmp_eq_u32_e32 vcc, 0, v3
	v_cndmask_b32_e32 v3, v13, v1, vcc
	v_cndmask_b32_e32 v13, v15, v28, vcc
	v_or_b32_e32 v17, 0x800000, v10
	v_add_u32_e32 v15, 20, v13
	v_cndmask_b32_e32 v10, v17, v10, vcc
	v_lshlrev_b64 v[20:21], v15, -1
	v_not_b32_e32 v15, v21
	v_not_b32_e32 v17, v20
	v_lshrrev_b64 v[24:25], v13, v[10:11]
	v_and_b32_e32 v21, 0, v15
	v_and_b32_e32 v20, v10, v17
	v_add_u32_e32 v15, 19, v13
	v_lshrrev_b32_e32 v10, 23, v24
	v_lshlrev_b64 v[22:23], v15, 1
	v_add3_u32 v13, v13, v3, v10
	v_bfe_u32 v3, v24, 20, 1
	v_add_u32_e32 v3, -1, v3
	v_cmp_eq_u64_e32 vcc, v[20:21], v[22:23]
	v_cndmask_b32_e32 v3, 0, v3, vcc
	v_add_u32_e32 v3, v3, v24
	v_and_b32_e32 v3, 0xfffff, v3
	v_add_co_u32_e32 v20, vcc, v3, v24
	v_add_u32_e32 v10, 6, v13
	v_addc_co_u32_e32 v21, vcc, 0, v25, vcc
	v_cmp_ne_u32_e32 vcc, 0, v10
                                        ; implicit-def: $vgpr3
	s_and_saveexec_b64 s[0:1], vcc
	s_xor_b64 s[0:1], exec, s[0:1]
; %bb.1043:                             ;   in Loop: Header=BB19_959 Depth=1
	v_add_u32_e32 v3, 7, v13
	v_cmp_lt_u64_e32 vcc, s[10:11], v[20:21]
	v_cndmask_b32_e32 v3, v10, v3, vcc
	v_cndmask_b32_e64 v10, 0, 1, vcc
	v_lshrrev_b64 v[20:21], v10, v[20:21]
; %bb.1044:                             ;   in Loop: Header=BB19_959 Depth=1
	s_andn2_saveexec_b64 s[0:1], s[0:1]
; %bb.1045:                             ;   in Loop: Header=BB19_959 Depth=1
	v_bfe_u32 v3, v20, 23, 1
; %bb.1046:                             ;   in Loop: Header=BB19_959 Depth=1
	s_or_b64 exec, exec, s[0:1]
	v_lshrrev_b64 v[20:21], 20, v[20:21]
	v_cmp_gt_i32_e32 vcc, 16, v3
	v_cndmask_b32_e32 v23, 0, v21, vcc
	v_cndmask_b32_e32 v22, 7, v20, vcc
	v_cmp_ne_u32_e32 vcc, 0, v3
	v_cmp_ne_u64_e64 s[0:1], 0, v[22:23]
	s_or_b64 s[0:1], vcc, s[0:1]
                                        ; implicit-def: $vgpr20_vgpr21
	s_and_saveexec_b64 s[28:29], s[0:1]
	s_xor_b64 s[0:1], exec, s[28:29]
; %bb.1047:                             ;   in Loop: Header=BB19_959 Depth=1
	v_min_i32_e32 v3, 15, v3
	v_lshl_or_b32 v3, v3, 3, v4
	v_and_or_b32 v20, v22, 7, v3
                                        ; implicit-def: $vgpr4
; %bb.1048:                             ;   in Loop: Header=BB19_959 Depth=1
	s_andn2_saveexec_b64 s[0:1], s[0:1]
; %bb.1049:                             ;   in Loop: Header=BB19_959 Depth=1
	v_pk_mov_b32 v[20:21], v[4:5], v[4:5] op_sel:[0,1]
; %bb.1050:                             ;   in Loop: Header=BB19_959 Depth=1
	s_or_b64 exec, exec, s[0:1]
.LBB19_1051:                            ;   in Loop: Header=BB19_959 Depth=1
	s_or_b64 exec, exec, s[16:17]
.LBB19_1052:                            ;   in Loop: Header=BB19_959 Depth=1
	s_andn2_saveexec_b64 s[0:1], s[14:15]
	s_or_b64 exec, exec, s[0:1]
                                        ; implicit-def: $vgpr3
.LBB19_1053:                            ;   in Loop: Header=BB19_959 Depth=1
	s_andn2_saveexec_b64 s[0:1], s[12:13]
; %bb.1054:                             ;   in Loop: Header=BB19_959 Depth=1
	v_or_b32_sdwa v3, v3, s25 dst_sel:DWORD dst_unused:UNUSED_PAD src0_sel:BYTE_3 src1_sel:DWORD
	v_cmp_eq_u64_e32 vcc, 0, v[10:11]
	v_cndmask_b32_e32 v20, v3, v20, vcc
; %bb.1055:                             ;   in Loop: Header=BB19_959 Depth=1
	s_or_b64 exec, exec, s[0:1]
	v_lshlrev_b32_e32 v3, 16, v5
	v_div_scale_f32 v4, s[0:1], s33, s33, v3
	v_rcp_f32_e32 v10, v4
	v_div_scale_f32 v13, vcc, v3, s33, v3
	v_mov_b32_e32 v25, v11
	v_fma_f32 v15, -v4, v10, 1.0
	v_fmac_f32_e32 v10, v15, v10
	v_mul_f32_e32 v15, v13, v10
	v_fma_f32 v17, -v4, v15, v13
	v_fmac_f32_e32 v15, v17, v10
	v_fma_f32 v4, -v4, v15, v13
	v_div_fmas_f32 v4, v4, v10, v15
	v_div_fixup_f32 v3, v4, s33, v3
	v_and_b32_sdwa v4, v3, s23 dst_sel:DWORD dst_unused:UNUSED_PAD src0_sel:BYTE_3 src1_sel:DWORD
	v_and_b32_e32 v24, 0x7f800000, v3
	v_and_b32_e32 v10, 0x7fffff, v3
	v_or_b32_e32 v22, 0x7e, v4
	v_cmp_ne_u64_e32 vcc, s[6:7], v[24:25]
	s_and_saveexec_b64 s[0:1], vcc
	s_xor_b64 s[12:13], exec, s[0:1]
	s_cbranch_execz .LBB19_1069
; %bb.1056:                             ;   in Loop: Header=BB19_959 Depth=1
	v_and_b32_e32 v24, 0x7fffffff, v3
	v_mov_b32_e32 v25, v11
	v_cmp_gt_u64_e32 vcc, s[8:9], v[24:25]
	s_and_saveexec_b64 s[0:1], vcc
	s_xor_b64 s[14:15], exec, s[0:1]
	s_cbranch_execz .LBB19_1068
; %bb.1057:                             ;   in Loop: Header=BB19_959 Depth=1
	v_cmp_ne_u32_e32 vcc, 0, v3
	v_pk_mov_b32 v[22:23], 0, 0
	s_and_saveexec_b64 s[16:17], vcc
	s_cbranch_execz .LBB19_1067
; %bb.1058:                             ;   in Loop: Header=BB19_959 Depth=1
	v_bfe_u32 v3, v3, 23, 8
	v_sub_u32_e32 v15, 0x79, v3
	v_cmp_gt_u32_e32 vcc, s24, v3
	v_add_u32_e32 v13, 0xffffff81, v3
	v_cndmask_b32_e32 v15, 0, v15, vcc
	v_cmp_eq_u32_e32 vcc, 0, v3
	v_cndmask_b32_e32 v3, v13, v1, vcc
	v_cndmask_b32_e32 v13, v15, v28, vcc
	v_or_b32_e32 v17, 0x800000, v10
	v_add_u32_e32 v15, 20, v13
	v_cndmask_b32_e32 v10, v17, v10, vcc
	v_lshlrev_b64 v[22:23], v15, -1
	v_not_b32_e32 v15, v23
	v_not_b32_e32 v17, v22
	v_lshrrev_b64 v[26:27], v13, v[10:11]
	v_and_b32_e32 v23, 0, v15
	v_and_b32_e32 v22, v10, v17
	v_add_u32_e32 v15, 19, v13
	v_lshrrev_b32_e32 v10, 23, v26
	v_lshlrev_b64 v[24:25], v15, 1
	v_add3_u32 v13, v13, v3, v10
	v_bfe_u32 v3, v26, 20, 1
	v_add_u32_e32 v3, -1, v3
	v_cmp_eq_u64_e32 vcc, v[22:23], v[24:25]
	v_cndmask_b32_e32 v3, 0, v3, vcc
	v_add_u32_e32 v3, v3, v26
	v_and_b32_e32 v3, 0xfffff, v3
	v_add_co_u32_e32 v22, vcc, v3, v26
	v_add_u32_e32 v10, 6, v13
	v_addc_co_u32_e32 v23, vcc, 0, v27, vcc
	v_cmp_ne_u32_e32 vcc, 0, v10
                                        ; implicit-def: $vgpr3
	s_and_saveexec_b64 s[0:1], vcc
	s_xor_b64 s[0:1], exec, s[0:1]
; %bb.1059:                             ;   in Loop: Header=BB19_959 Depth=1
	v_add_u32_e32 v3, 7, v13
	v_cmp_lt_u64_e32 vcc, s[10:11], v[22:23]
	v_cndmask_b32_e32 v3, v10, v3, vcc
	v_cndmask_b32_e64 v10, 0, 1, vcc
	v_lshrrev_b64 v[22:23], v10, v[22:23]
; %bb.1060:                             ;   in Loop: Header=BB19_959 Depth=1
	s_andn2_saveexec_b64 s[0:1], s[0:1]
; %bb.1061:                             ;   in Loop: Header=BB19_959 Depth=1
	v_bfe_u32 v3, v22, 23, 1
; %bb.1062:                             ;   in Loop: Header=BB19_959 Depth=1
	s_or_b64 exec, exec, s[0:1]
	v_lshrrev_b64 v[22:23], 20, v[22:23]
	v_cmp_gt_i32_e32 vcc, 16, v3
	v_cndmask_b32_e32 v25, 0, v23, vcc
	v_cndmask_b32_e32 v24, 7, v22, vcc
	v_cmp_ne_u32_e32 vcc, 0, v3
	v_cmp_ne_u64_e64 s[0:1], 0, v[24:25]
	s_or_b64 s[0:1], vcc, s[0:1]
                                        ; implicit-def: $vgpr22_vgpr23
	s_and_saveexec_b64 s[28:29], s[0:1]
	s_xor_b64 s[0:1], exec, s[28:29]
; %bb.1063:                             ;   in Loop: Header=BB19_959 Depth=1
	v_min_i32_e32 v3, 15, v3
	v_lshl_or_b32 v3, v3, 3, v4
	v_and_or_b32 v22, v24, 7, v3
                                        ; implicit-def: $vgpr4
; %bb.1064:                             ;   in Loop: Header=BB19_959 Depth=1
	s_andn2_saveexec_b64 s[0:1], s[0:1]
; %bb.1065:                             ;   in Loop: Header=BB19_959 Depth=1
	v_pk_mov_b32 v[22:23], v[4:5], v[4:5] op_sel:[0,1]
; %bb.1066:                             ;   in Loop: Header=BB19_959 Depth=1
	s_or_b64 exec, exec, s[0:1]
.LBB19_1067:                            ;   in Loop: Header=BB19_959 Depth=1
	s_or_b64 exec, exec, s[16:17]
.LBB19_1068:                            ;   in Loop: Header=BB19_959 Depth=1
	s_andn2_saveexec_b64 s[0:1], s[14:15]
	s_or_b64 exec, exec, s[0:1]
                                        ; implicit-def: $vgpr3
.LBB19_1069:                            ;   in Loop: Header=BB19_959 Depth=1
	s_andn2_saveexec_b64 s[0:1], s[12:13]
; %bb.1070:                             ;   in Loop: Header=BB19_959 Depth=1
	v_or_b32_sdwa v3, v3, s25 dst_sel:DWORD dst_unused:UNUSED_PAD src0_sel:BYTE_3 src1_sel:DWORD
	v_cmp_eq_u64_e32 vcc, 0, v[10:11]
	v_cndmask_b32_e32 v22, v3, v22, vcc
; %bb.1071:                             ;   in Loop: Header=BB19_959 Depth=1
	s_or_b64 exec, exec, s[0:1]
	v_and_b32_e32 v3, 0xffff0000, v5
	v_div_scale_f32 v4, s[0:1], s33, s33, v3
	v_rcp_f32_e32 v5, v4
	v_div_scale_f32 v10, vcc, v3, s33, v3
	v_mov_b32_e32 v27, v11
	v_fma_f32 v13, -v4, v5, 1.0
	v_fmac_f32_e32 v5, v13, v5
	v_mul_f32_e32 v13, v10, v5
	v_fma_f32 v15, -v4, v13, v10
	v_fmac_f32_e32 v13, v15, v5
	v_fma_f32 v4, -v4, v13, v10
	v_div_fmas_f32 v4, v4, v5, v13
	v_div_fixup_f32 v3, v4, s33, v3
	v_and_b32_sdwa v4, v3, s23 dst_sel:DWORD dst_unused:UNUSED_PAD src0_sel:BYTE_3 src1_sel:DWORD
	v_and_b32_e32 v26, 0x7f800000, v3
	v_and_b32_e32 v10, 0x7fffff, v3
	v_or_b32_e32 v24, 0x7e, v4
	v_cmp_ne_u64_e32 vcc, s[6:7], v[26:27]
	s_and_saveexec_b64 s[0:1], vcc
	s_xor_b64 s[12:13], exec, s[0:1]
	s_cbranch_execz .LBB19_1085
; %bb.1072:                             ;   in Loop: Header=BB19_959 Depth=1
	v_and_b32_e32 v26, 0x7fffffff, v3
	v_mov_b32_e32 v27, v11
	v_cmp_gt_u64_e32 vcc, s[8:9], v[26:27]
	s_and_saveexec_b64 s[0:1], vcc
	s_xor_b64 s[14:15], exec, s[0:1]
	s_cbranch_execz .LBB19_1084
; %bb.1073:                             ;   in Loop: Header=BB19_959 Depth=1
	v_cmp_ne_u32_e32 vcc, 0, v3
	v_pk_mov_b32 v[24:25], 0, 0
	s_and_saveexec_b64 s[16:17], vcc
	s_cbranch_execz .LBB19_1083
; %bb.1074:                             ;   in Loop: Header=BB19_959 Depth=1
	v_bfe_u32 v3, v3, 23, 8
	v_sub_u32_e32 v13, 0x79, v3
	v_cmp_gt_u32_e32 vcc, s24, v3
	v_add_u32_e32 v5, 0xffffff81, v3
	v_cndmask_b32_e32 v13, 0, v13, vcc
	v_cmp_eq_u32_e32 vcc, 0, v3
	v_cndmask_b32_e32 v3, v5, v1, vcc
	v_cndmask_b32_e32 v5, v13, v28, vcc
	v_or_b32_e32 v15, 0x800000, v10
	v_add_u32_e32 v13, 20, v5
	v_cndmask_b32_e32 v10, v15, v10, vcc
	v_lshlrev_b64 v[24:25], v13, -1
	v_not_b32_e32 v13, v25
	v_not_b32_e32 v15, v24
	v_lshrrev_b64 v[30:31], v5, v[10:11]
	v_and_b32_e32 v25, 0, v13
	v_and_b32_e32 v24, v10, v15
	v_add_u32_e32 v13, 19, v5
	v_lshrrev_b32_e32 v10, 23, v30
	v_lshlrev_b64 v[26:27], v13, 1
	v_add3_u32 v10, v5, v3, v10
	v_bfe_u32 v3, v30, 20, 1
	v_add_u32_e32 v3, -1, v3
	v_cmp_eq_u64_e32 vcc, v[24:25], v[26:27]
	v_cndmask_b32_e32 v3, 0, v3, vcc
	v_add_u32_e32 v3, v3, v30
	v_and_b32_e32 v3, 0xfffff, v3
	v_add_co_u32_e32 v24, vcc, v3, v30
	v_add_u32_e32 v5, 6, v10
	v_addc_co_u32_e32 v25, vcc, 0, v31, vcc
	v_cmp_ne_u32_e32 vcc, 0, v5
                                        ; implicit-def: $vgpr3
	s_and_saveexec_b64 s[0:1], vcc
	s_xor_b64 s[0:1], exec, s[0:1]
; %bb.1075:                             ;   in Loop: Header=BB19_959 Depth=1
	v_add_u32_e32 v3, 7, v10
	v_cmp_lt_u64_e32 vcc, s[10:11], v[24:25]
	v_cndmask_b32_e32 v3, v5, v3, vcc
	v_cndmask_b32_e64 v5, 0, 1, vcc
	v_lshrrev_b64 v[24:25], v5, v[24:25]
; %bb.1076:                             ;   in Loop: Header=BB19_959 Depth=1
	s_andn2_saveexec_b64 s[0:1], s[0:1]
; %bb.1077:                             ;   in Loop: Header=BB19_959 Depth=1
	v_bfe_u32 v3, v24, 23, 1
; %bb.1078:                             ;   in Loop: Header=BB19_959 Depth=1
	s_or_b64 exec, exec, s[0:1]
	v_lshrrev_b64 v[24:25], 20, v[24:25]
	v_cmp_gt_i32_e32 vcc, 16, v3
	v_cndmask_b32_e32 v27, 0, v25, vcc
	v_cndmask_b32_e32 v26, 7, v24, vcc
	v_cmp_ne_u32_e32 vcc, 0, v3
	v_cmp_ne_u64_e64 s[0:1], 0, v[26:27]
	s_or_b64 s[0:1], vcc, s[0:1]
                                        ; implicit-def: $vgpr24_vgpr25
	s_and_saveexec_b64 s[28:29], s[0:1]
	s_xor_b64 s[0:1], exec, s[28:29]
; %bb.1079:                             ;   in Loop: Header=BB19_959 Depth=1
	v_min_i32_e32 v3, 15, v3
	v_lshl_or_b32 v3, v3, 3, v4
	v_and_or_b32 v24, v26, 7, v3
                                        ; implicit-def: $vgpr4
; %bb.1080:                             ;   in Loop: Header=BB19_959 Depth=1
	s_andn2_saveexec_b64 s[0:1], s[0:1]
; %bb.1081:                             ;   in Loop: Header=BB19_959 Depth=1
	v_pk_mov_b32 v[24:25], v[4:5], v[4:5] op_sel:[0,1]
; %bb.1082:                             ;   in Loop: Header=BB19_959 Depth=1
	s_or_b64 exec, exec, s[0:1]
.LBB19_1083:                            ;   in Loop: Header=BB19_959 Depth=1
	s_or_b64 exec, exec, s[16:17]
.LBB19_1084:                            ;   in Loop: Header=BB19_959 Depth=1
	s_andn2_saveexec_b64 s[0:1], s[14:15]
	s_or_b64 exec, exec, s[0:1]
                                        ; implicit-def: $vgpr3
.LBB19_1085:                            ;   in Loop: Header=BB19_959 Depth=1
	s_andn2_saveexec_b64 s[0:1], s[12:13]
	s_cbranch_execz .LBB19_958
; %bb.1086:                             ;   in Loop: Header=BB19_959 Depth=1
	v_or_b32_sdwa v3, v3, s25 dst_sel:DWORD dst_unused:UNUSED_PAD src0_sel:BYTE_3 src1_sel:DWORD
	v_cmp_eq_u64_e32 vcc, 0, v[10:11]
	v_cndmask_b32_e32 v24, v3, v24, vcc
	s_branch .LBB19_958
.LBB19_1087:
	s_or_b64 exec, exec, s[2:3]
	v_lshl_add_u32 v2, s18, 3, v0
	v_cmp_gt_i32_e32 vcc, s43, v2
	s_and_saveexec_b64 s[44:45], vcc
	s_cbranch_execz .LBB19_1111
; %bb.1088:
	v_cvt_f32_u32_e32 v1, s86
	v_add_u32_e32 v3, s86, v2
	v_mov_b32_e32 v4, s86
	s_sub_i32 s2, 0, s86
	v_rcp_iflag_f32_e32 v1, v1
	v_cmp_gt_i32_e32 vcc, s43, v3
	v_max_i32_e32 v5, s43, v3
	v_addc_co_u32_e64 v3, s[0:1], v2, v4, vcc
	v_mul_f32_e32 v1, 0x4f7ffffe, v1
	v_cvt_u32_f32_e32 v1, v1
	v_sub_u32_e32 v3, v5, v3
	s_cmp_eq_u32 s86, 1
	v_mul_lo_u32 v4, s2, v1
	v_mul_hi_u32 v4, v1, v4
	v_add_u32_e32 v1, v1, v4
	v_mul_hi_u32 v1, v3, v1
	v_mul_lo_u32 v4, v1, s86
	v_sub_u32_e32 v3, v3, v4
	v_add_u32_e32 v5, 1, v1
	v_cmp_le_u32_e64 s[0:1], s86, v3
	v_subrev_u32_e32 v4, s86, v3
	v_cndmask_b32_e64 v1, v1, v5, s[0:1]
	v_cndmask_b32_e64 v3, v3, v4, s[0:1]
	v_add_u32_e32 v4, 1, v1
	v_cmp_le_u32_e64 s[0:1], s86, v3
	v_cndmask_b32_e64 v1, v1, v4, s[0:1]
	v_addc_co_u32_e32 v1, vcc, 1, v1, vcc
	v_cmp_lt_u32_e32 vcc, 3, v1
	s_cselect_b64 s[0:1], -1, 0
	s_and_b64 s[2:3], vcc, s[0:1]
	s_mov_b64 s[0:1], -1
	s_and_saveexec_b64 s[48:49], s[2:3]
	s_cbranch_execz .LBB19_1092
; %bb.1089:
	s_lshl_b64 s[0:1], s[40:41], 1
	s_add_u32 s46, s92, s0
	s_addc_u32 s0, s93, s1
	s_add_u32 s47, s34, s40
	s_addc_u32 s1, s35, s41
	v_and_b32_e32 v3, -4, v1
	s_mov_b32 s84, s58
	s_mov_b32 s83, s91
	;; [unrolled: 1-line block ×3, first 2 shown]
	s_mov_b64 s[90:91], s[62:63]
	s_mov_b64 s[94:95], s[66:67]
	s_mov_b32 s54, s33
	s_mov_b32 s55, s33
	;; [unrolled: 1-line block ×3, first 2 shown]
	s_mov_b64 s[50:51], 0
	v_mov_b32_e32 v16, s1
	v_mov_b32_e32 v17, s0
	s_movk_i32 s79, 0x80
	s_mov_b64 s[52:53], 0x7f800000
	s_mov_b64 s[56:57], 0x43e00000
	;; [unrolled: 1-line block ×3, first 2 shown]
	s_movk_i32 s80, 0x7a
	v_mov_b32_e32 v18, 0xffffff82
	v_mov_b32_e32 v19, 0x78
	s_mov_b64 s[60:61], 0xffffff
	s_movk_i32 s81, 0x7f
	v_mov_b32_e32 v5, 0
	v_mov_b32_e32 v6, v2
	v_mov_b32_e32 v20, v3
.LBB19_1090:                            ; =>This Inner Loop Header: Depth=1
	v_ashrrev_i32_e32 v7, 31, v6
	v_lshlrev_b64 v[8:9], 1, v[6:7]
	v_add_co_u32_e32 v8, vcc, s46, v8
	v_addc_co_u32_e32 v9, vcc, v17, v9, vcc
	global_load_dwordx2 v[22:23], v[8:9], off
	v_add_co_u32_e32 v8, vcc, s47, v6
	v_addc_co_u32_e32 v9, vcc, v16, v7, vcc
	v_mov_b32_e32 v31, v5
	v_mov_b32_e32 v33, v5
	;; [unrolled: 1-line block ×7, first 2 shown]
	v_add_u32_e32 v20, -4, v20
	v_add_u32_e32 v6, 4, v6
	s_waitcnt vmcnt(0)
	v_and_b32_e32 v12, 0xffff0000, v22
	v_lshlrev_b32_e32 v7, 16, v22
	v_div_scale_f32 v14, s[0:1], s54, s54, v12
	v_and_b32_e32 v10, 0xffff0000, v23
	v_div_scale_f32 v22, s[0:1], s33, s33, v7
	v_rcp_f32_e32 v28, v14
	v_lshlrev_b32_e32 v4, 16, v23
	v_div_scale_f32 v24, s[2:3], s78, s78, v10
	v_rcp_f32_e32 v29, v22
	v_div_scale_f32 v26, s[4:5], s55, s55, v4
	v_rcp_f32_e32 v30, v24
	v_rcp_f32_e32 v32, v26
	v_fma_f32 v34, -v14, v28, 1.0
	v_div_scale_f32 v21, vcc, v12, s54, v12
	v_fma_f32 v36, -v22, v29, 1.0
	v_fmac_f32_e32 v28, v34, v28
	v_div_scale_f32 v23, s[0:1], v7, s33, v7
	v_fma_f32 v38, -v24, v30, 1.0
	v_fmac_f32_e32 v29, v36, v29
	v_mul_f32_e32 v34, v21, v28
	v_div_scale_f32 v25, s[2:3], v10, s78, v10
	v_fma_f32 v39, -v26, v32, 1.0
	v_fmac_f32_e32 v30, v38, v30
	v_mul_f32_e32 v36, v23, v29
	v_fma_f32 v40, -v14, v34, v21
	v_div_scale_f32 v27, s[4:5], v4, s55, v4
	v_fmac_f32_e32 v32, v39, v32
	v_mul_f32_e32 v38, v25, v30
	v_fma_f32 v41, -v22, v36, v23
	v_fmac_f32_e32 v34, v40, v28
	v_mul_f32_e32 v39, v27, v32
	v_fma_f32 v42, -v24, v38, v25
	v_fmac_f32_e32 v36, v41, v29
	v_fma_f32 v14, -v14, v34, v21
	v_fma_f32 v43, -v26, v39, v27
	v_fmac_f32_e32 v38, v42, v30
	v_fma_f32 v21, -v22, v36, v23
	v_div_fmas_f32 v14, v14, v28, v34
	s_mov_b64 vcc, s[0:1]
	v_fmac_f32_e32 v39, v43, v32
	v_fma_f32 v22, -v24, v38, v25
	v_div_fixup_f32 v24, v14, s54, v12
	v_div_fmas_f32 v12, v21, v29, v36
	s_mov_b64 vcc, s[2:3]
	v_fma_f32 v23, -v26, v39, v27
	v_div_fixup_f32 v26, v12, s33, v7
	v_div_fmas_f32 v12, v22, v30, v38
	s_mov_b64 vcc, s[4:5]
	v_and_b32_e32 v30, 0x7f800000, v24
	v_div_fixup_f32 v28, v12, s78, v10
	v_div_fmas_f32 v10, v23, v32, v39
	v_cmp_ne_u64_e32 vcc, s[52:53], v[30:31]
	v_div_fixup_f32 v31, v10, s55, v4
	v_and_b32_e32 v32, 0x7f800000, v31
	v_and_b32_e32 v38, 0x7fffffff, v31
	v_mov_b32_e32 v39, v5
	v_cmp_ne_u64_e64 s[8:9], s[52:53], v[32:33]
	v_cmp_gt_u64_e64 s[12:13], s[58:59], v[38:39]
	v_bfe_u32 v43, v31, 23, 8
	s_and_b64 s[66:67], s[8:9], s[12:13]
	v_cmp_ne_u32_e64 s[22:23], 0, v31
	v_and_b32_e32 v36, 0x7f800000, v26
	v_bfe_u32 v42, v28, 23, 8
	v_cmp_lt_u64_e64 s[14:15], s[56:57], v[38:39]
	s_and_b64 s[62:63], s[66:67], s[22:23]
	v_sub_u32_e32 v39, 0x79, v43
	v_cmp_gt_u32_e64 s[22:23], s80, v43
	v_bfe_u32 v41, v26, 23, 8
	v_cmp_ne_u64_e64 s[0:1], s[52:53], v[36:37]
	v_and_b32_e32 v36, 0x7fffffff, v28
	v_sub_u32_e32 v38, 0x79, v42
	v_cndmask_b32_e64 v39, 0, v39, s[22:23]
	v_cmp_gt_u32_e64 s[22:23], s80, v42
	v_bfe_u32 v40, v24, 23, 8
	v_and_b32_e32 v34, 0x7f800000, v28
	v_and_b32_e32 v32, 0x7fffffff, v24
	v_cmp_lt_u64_e64 s[16:17], s[56:57], v[36:37]
	v_cmp_gt_u64_e64 s[10:11], s[58:59], v[36:37]
	v_sub_u32_e32 v37, 0x79, v41
	v_cndmask_b32_e64 v38, 0, v38, s[22:23]
	v_cmp_gt_u32_e64 s[22:23], s80, v41
	v_cmp_ne_u64_e64 s[4:5], s[52:53], v[34:35]
	v_and_b32_e32 v34, 0x7fffffff, v26
	v_cmp_gt_u64_e64 s[2:3], s[58:59], v[32:33]
	v_sub_u32_e32 v36, 0x79, v40
	v_cndmask_b32_e64 v37, 0, v37, s[22:23]
	v_cmp_gt_u32_e64 s[22:23], s80, v40
	v_and_b32_e32 v10, 0x7fffff, v28
	v_cmp_gt_u64_e64 s[6:7], s[58:59], v[34:35]
	s_and_b64 s[72:73], s[4:5], s[10:11]
	s_and_b64 s[76:77], vcc, s[2:3]
	v_cmp_ne_u32_e64 s[24:25], 0, v28
	v_cmp_ne_u32_e64 s[28:29], 0, v24
	v_cndmask_b32_e64 v36, 0, v36, s[22:23]
	v_cmp_eq_u32_e64 s[22:23], 0, v43
	v_and_b32_e32 v14, 0x7fffff, v24
	v_and_b32_e32 v4, 0x7fffff, v31
	v_cmp_lt_u64_e64 s[18:19], s[56:57], v[34:35]
	s_and_b64 s[74:75], s[0:1], s[6:7]
	v_cmp_ne_u32_e64 s[26:27], 0, v26
	s_and_b64 s[70:71], s[76:77], s[28:29]
	s_and_b64 s[64:65], s[72:73], s[24:25]
	v_add_u32_e32 v34, 0xffffff81, v42
	v_or_b32_e32 v46, 0x800000, v10
	v_cmp_eq_u32_e64 s[24:25], 0, v42
	v_cmp_eq_u32_e64 s[28:29], 0, v40
	v_cndmask_b32_e64 v63, v39, v19, s[22:23]
	v_and_b32_e32 v12, 0x7fffff, v26
	v_cmp_lt_u64_e64 s[20:21], s[56:57], v[32:33]
	s_and_b64 s[68:69], s[74:75], s[26:27]
	v_add_u32_e32 v32, 0xffffff81, v40
	v_or_b32_e32 v44, 0x800000, v14
	v_or_b32_e32 v47, 0x800000, v4
	v_cndmask_b32_e64 v57, v34, v18, s[24:25]
	v_cmp_eq_u32_e64 s[26:27], 0, v41
	v_cndmask_b32_e64 v60, v36, v19, s[28:29]
	v_cndmask_b32_e64 v62, v38, v19, s[24:25]
	;; [unrolled: 1-line block ×3, first 2 shown]
	v_add_u32_e32 v46, 20, v63
	v_add_u32_e32 v33, 0xffffff81, v41
	v_or_b32_e32 v45, 0x800000, v12
	v_cndmask_b32_e64 v59, v32, v18, s[28:29]
	v_cndmask_b32_e64 v61, v37, v19, s[26:27]
	;; [unrolled: 1-line block ×4, first 2 shown]
	v_add_u32_e32 v44, 20, v62
	v_add_u32_e32 v40, 20, v60
	v_lshlrev_b64 v[46:47], v46, -1
	v_add_u32_e32 v35, 0xffffff81, v43
	v_cndmask_b32_e64 v58, v33, v18, s[26:27]
	v_mov_b32_e32 v33, v5
	v_cndmask_b32_e64 v36, v45, v12, s[26:27]
	v_add_u32_e32 v42, 20, v61
	v_lshlrev_b64 v[40:41], v40, -1
	v_lshlrev_b64 v[44:45], v44, -1
	v_not_b32_e32 v46, v46
	v_cndmask_b32_e64 v56, v35, v18, s[22:23]
	v_mov_b32_e32 v35, v5
	v_mov_b32_e32 v39, v5
	v_lshlrev_b64 v[42:43], v42, -1
	v_not_b32_e32 v44, v44
	v_not_b32_e32 v40, v40
	v_and_b32_e32 v46, v32, v46
	v_lshrrev_b64 v[32:33], v63, v[32:33]
	v_mov_b32_e32 v37, v5
	v_not_b32_e32 v42, v42
	v_and_b32_e32 v40, v38, v40
	v_and_b32_e32 v44, v34, v44
	v_add_u32_e32 v48, 19, v60
	v_lshrrev_b64 v[34:35], v62, v[34:35]
	v_lshrrev_b64 v[38:39], v60, v[38:39]
	v_lshrrev_b32_e32 v64, 23, v32
	v_mov_b32_e32 v41, v5
	v_and_b32_e32 v42, v36, v42
	v_add_u32_e32 v50, 19, v61
	v_lshlrev_b64 v[48:49], v48, 1
	v_lshrrev_b64 v[36:37], v61, v[36:37]
	v_lshrrev_b32_e32 v65, 23, v34
	v_add3_u32 v56, v63, v56, v64
	v_bfe_u32 v64, v38, 20, 1
	v_mov_b32_e32 v43, v5
	v_add_u32_e32 v52, 19, v62
	v_lshlrev_b64 v[50:51], v50, 1
	v_lshrrev_b32_e32 v66, 23, v36
	v_add3_u32 v57, v62, v57, v65
	v_bfe_u32 v65, v36, 20, 1
	v_add_u32_e32 v64, -1, v64
	v_cmp_eq_u64_e64 s[22:23], v[40:41], v[48:49]
	v_mov_b32_e32 v45, v5
	v_add_u32_e32 v54, 19, v63
	v_lshlrev_b64 v[52:53], v52, 1
	v_lshrrev_b32_e32 v67, 23, v38
	v_add3_u32 v58, v61, v58, v66
	v_bfe_u32 v66, v34, 20, 1
	v_add_u32_e32 v65, -1, v65
	v_cndmask_b32_e64 v40, 0, v64, s[22:23]
	v_cmp_eq_u64_e64 s[22:23], v[42:43], v[50:51]
	v_mov_b32_e32 v47, v5
	v_lshlrev_b64 v[54:55], v54, 1
	v_add3_u32 v59, v60, v59, v67
	v_bfe_u32 v67, v32, 20, 1
	v_add_u32_e32 v66, -1, v66
	v_cndmask_b32_e64 v41, 0, v65, s[22:23]
	v_cmp_eq_u64_e64 s[22:23], v[44:45], v[52:53]
	v_add_u32_e32 v67, -1, v67
	v_cndmask_b32_e64 v42, 0, v66, s[22:23]
	v_cmp_eq_u64_e64 s[22:23], v[46:47], v[54:55]
	v_cndmask_b32_e64 v43, 0, v67, s[22:23]
	v_add_u32_e32 v43, v43, v32
	v_and_b32_e32 v43, 0xfffff, v43
	v_add_u32_e32 v42, v42, v34
	v_add_co_u32_e64 v32, s[22:23], v43, v32
	v_and_b32_e32 v42, 0xfffff, v42
	v_addc_co_u32_e64 v33, s[22:23], 0, v33, s[22:23]
	v_add_u32_e32 v41, v41, v36
	v_add_co_u32_e64 v34, s[22:23], v42, v34
	v_and_b32_e32 v41, 0xfffff, v41
	v_addc_co_u32_e64 v35, s[22:23], 0, v35, s[22:23]
	;; [unrolled: 4-line block ×3, first 2 shown]
	v_add_co_u32_e64 v38, s[22:23], v40, v38
	v_add_u32_e32 v63, 6, v59
	v_addc_co_u32_e64 v39, s[22:23], 0, v39, s[22:23]
	v_add_u32_e32 v60, 6, v56
	v_add_u32_e32 v62, 6, v58
	v_cmp_ne_u32_e64 s[22:23], 0, v63
	v_add_u32_e32 v40, 7, v59
	v_cmp_lt_u64_e64 s[38:39], s[60:61], v[38:39]
	v_add_u32_e32 v61, 6, v57
	v_cmp_ne_u32_e64 s[24:25], 0, v62
	v_cmp_ne_u32_e64 s[28:29], 0, v60
	v_add_u32_e32 v43, 7, v56
	v_cmp_lt_u64_e64 s[30:31], s[60:61], v[32:33]
	v_cndmask_b32_e64 v40, v63, v40, s[38:39]
	v_bfe_u32 v47, v38, 23, 1
	s_and_b64 s[22:23], s[70:71], s[22:23]
	v_cmp_ne_u32_e64 s[26:27], 0, v61
	v_add_u32_e32 v42, 7, v57
	v_cndmask_b32_e64 v43, v60, v43, s[30:31]
	v_cmp_lt_u64_e64 s[34:35], s[60:61], v[34:35]
	v_cmp_lt_u64_e64 s[36:37], s[60:61], v[36:37]
	v_bfe_u32 v44, v32, 23, 1
	v_cndmask_b32_e64 v40, v47, v40, s[22:23]
	s_and_b64 s[24:25], s[68:69], s[24:25]
	s_and_b64 s[28:29], s[62:63], s[28:29]
	;; [unrolled: 1-line block ×3, first 2 shown]
	v_add_u32_e32 v41, 7, v58
	v_cndmask_b32_e64 v42, v61, v42, s[34:35]
	v_bfe_u32 v45, v34, 23, 1
	s_and_b64 s[26:27], s[64:65], s[26:27]
	v_cndmask_b32_e64 v43, v44, v43, s[28:29]
	v_cndmask_b32_e64 v44, 0, 1, s[22:23]
	s_and_b64 s[22:23], s[24:25], s[36:37]
	v_cndmask_b32_e64 v41, v62, v41, s[36:37]
	v_bfe_u32 v46, v36, 23, 1
	v_cndmask_b32_e64 v42, v45, v42, s[26:27]
	v_cndmask_b32_e64 v45, 0, 1, s[22:23]
	s_and_b64 s[22:23], s[26:27], s[34:35]
	v_cndmask_b32_e64 v41, v46, v41, s[24:25]
	v_cndmask_b32_e64 v46, 0, 1, s[22:23]
	s_and_b64 s[22:23], s[28:29], s[30:31]
	v_and_b32_sdwa v7, v24, s79 dst_sel:DWORD dst_unused:UNUSED_PAD src0_sel:BYTE_3 src1_sel:DWORD
	v_cndmask_b32_e64 v47, 0, 1, s[22:23]
	s_and_b64 s[20:21], vcc, s[20:21]
	v_cmp_eq_u64_e32 vcc, 0, v[14:15]
	v_and_b32_sdwa v21, v26, s79 dst_sel:DWORD dst_unused:UNUSED_PAD src0_sel:BYTE_3 src1_sel:DWORD
	v_or_b32_e32 v25, 0x7e, v7
	v_cmp_eq_u32_e64 s[12:13], 0, v24
	v_lshrrev_b64 v[32:33], v47, v[32:33]
	s_and_b64 s[18:19], s[0:1], s[18:19]
	v_or_b32_sdwa v24, v24, s81 dst_sel:DWORD dst_unused:UNUSED_PAD src0_sel:BYTE_3 src1_sel:DWORD
	v_cmp_eq_u64_e64 s[0:1], 0, v[12:13]
	s_or_b64 vcc, s[20:21], vcc
	v_and_b32_sdwa v22, v28, s79 dst_sel:DWORD dst_unused:UNUSED_PAD src0_sel:BYTE_3 src1_sel:DWORD
	v_or_b32_e32 v27, 0x7e, v21
	v_cmp_eq_u32_e64 s[10:11], 0, v26
	v_lshrrev_b64 v[34:35], v46, v[34:35]
	v_lshrrev_b64 v[32:33], 20, v[32:33]
	v_cmp_gt_i32_e64 s[22:23], 16, v43
	s_and_b64 s[16:17], s[4:5], s[16:17]
	s_and_b64 s[14:15], s[8:9], s[14:15]
	v_or_b32_sdwa v26, v26, s81 dst_sel:DWORD dst_unused:UNUSED_PAD src0_sel:BYTE_3 src1_sel:DWORD
	v_cmp_eq_u64_e64 s[4:5], 0, v[10:11]
	v_cmp_eq_u64_e64 s[8:9], 0, v[4:5]
	v_cndmask_b32_e32 v4, v24, v25, vcc
	s_or_b64 vcc, s[18:19], s[0:1]
	s_and_b64 s[0:1], s[76:77], s[12:13]
	v_and_b32_sdwa v23, v31, s79 dst_sel:DWORD dst_unused:UNUSED_PAD src0_sel:BYTE_3 src1_sel:DWORD
	v_or_b32_e32 v29, 0x7e, v22
	v_cmp_eq_u32_e64 s[6:7], 0, v28
	v_lshrrev_b64 v[36:37], v45, v[36:37]
	v_lshrrev_b64 v[34:35], 20, v[34:35]
	v_cndmask_b32_e64 v33, 0, v33, s[22:23]
	v_cndmask_b32_e64 v32, 7, v32, s[22:23]
	v_cmp_gt_i32_e64 s[22:23], 16, v42
	v_or_b32_sdwa v28, v28, s81 dst_sel:DWORD dst_unused:UNUSED_PAD src0_sel:BYTE_3 src1_sel:DWORD
	v_cndmask_b32_e32 v10, v26, v27, vcc
	s_or_b64 vcc, s[16:17], s[4:5]
	v_cndmask_b32_e64 v4, v4, 0, s[0:1]
	s_and_b64 s[0:1], s[74:75], s[10:11]
	v_or_b32_e32 v30, 0x7e, v23
	v_cmp_eq_u32_e64 s[2:3], 0, v31
	v_lshrrev_b64 v[38:39], v44, v[38:39]
	v_lshrrev_b64 v[36:37], 20, v[36:37]
	v_cndmask_b32_e64 v35, 0, v35, s[22:23]
	v_cndmask_b32_e64 v34, 7, v34, s[22:23]
	v_cmp_gt_i32_e64 s[22:23], 16, v41
	v_cmp_eq_u32_e64 s[28:29], 0, v43
	v_cmp_eq_u64_e64 s[38:39], 0, v[32:33]
	v_or_b32_sdwa v31, v31, s81 dst_sel:DWORD dst_unused:UNUSED_PAD src0_sel:BYTE_3 src1_sel:DWORD
	v_cndmask_b32_e32 v11, v28, v29, vcc
	s_or_b64 vcc, s[14:15], s[8:9]
	v_cndmask_b32_e64 v10, v10, 0, s[0:1]
	s_and_b64 s[0:1], s[72:73], s[6:7]
	v_lshrrev_b64 v[38:39], 20, v[38:39]
	v_cndmask_b32_e64 v37, 0, v37, s[22:23]
	v_cndmask_b32_e64 v36, 7, v36, s[22:23]
	v_cmp_gt_i32_e64 s[22:23], 16, v40
	v_cmp_eq_u32_e64 s[26:27], 0, v42
	v_cmp_eq_u64_e64 s[36:37], 0, v[34:35]
	s_and_b64 s[28:29], s[28:29], s[38:39]
	v_cndmask_b32_e32 v12, v31, v30, vcc
	v_cndmask_b32_e64 v11, v11, 0, s[0:1]
	s_and_b64 s[0:1], s[66:67], s[2:3]
	v_cndmask_b32_e64 v39, 0, v39, s[22:23]
	v_cndmask_b32_e64 v38, 7, v38, s[22:23]
	v_cmp_eq_u32_e64 s[24:25], 0, v41
	v_cmp_eq_u64_e64 s[34:35], 0, v[36:37]
	s_and_b64 s[26:27], s[26:27], s[36:37]
	v_cndmask_b32_e64 v12, v12, 0, s[0:1]
	s_and_b64 vcc, s[62:63], s[28:29]
	v_cmp_eq_u32_e64 s[22:23], 0, v40
	v_cmp_eq_u64_e64 s[30:31], 0, v[38:39]
	s_and_b64 s[24:25], s[24:25], s[34:35]
	v_cndmask_b32_e32 v12, v12, v23, vcc
	s_and_b64 vcc, s[64:65], s[26:27]
	s_and_b64 s[22:23], s[22:23], s[30:31]
	v_min_i32_e32 v33, 15, v40
	v_cndmask_b32_e32 v11, v11, v22, vcc
	s_and_b64 vcc, s[68:69], s[24:25]
	s_xor_b64 s[30:31], s[22:23], -1
	v_min_i32_e32 v35, 15, v41
	v_lshl_or_b32 v33, v33, 3, v7
	v_cndmask_b32_e32 v10, v10, v21, vcc
	s_and_b64 vcc, s[70:71], s[22:23]
	s_xor_b64 s[34:35], s[24:25], -1
	v_min_i32_e32 v37, 15, v42
	v_lshl_or_b32 v35, v35, 3, v21
	v_and_or_b32 v33, v38, 7, v33
	v_cndmask_b32_e32 v4, v4, v7, vcc
	s_and_b64 vcc, s[70:71], s[30:31]
	s_xor_b64 s[36:37], s[26:27], -1
	v_min_i32_e32 v39, 15, v43
	v_lshl_or_b32 v37, v37, 3, v22
	v_and_or_b32 v35, v36, 7, v35
	v_cndmask_b32_e32 v4, v4, v33, vcc
	s_and_b64 vcc, s[68:69], s[34:35]
	s_xor_b64 s[38:39], s[28:29], -1
	v_lshl_or_b32 v39, v39, 3, v23
	v_and_or_b32 v34, v34, 7, v37
	v_lshlrev_b16_e32 v4, 8, v4
	v_cndmask_b32_e32 v7, v10, v35, vcc
	s_and_b64 vcc, s[64:65], s[36:37]
	v_and_or_b32 v32, v32, 7, v39
	v_or_b32_sdwa v4, v7, v4 dst_sel:DWORD dst_unused:UNUSED_PAD src0_sel:BYTE_0 src1_sel:DWORD
	v_cndmask_b32_e32 v7, v11, v34, vcc
	s_and_b64 vcc, s[62:63], s[38:39]
	v_lshlrev_b16_e32 v7, 8, v7
	v_cndmask_b32_e32 v10, v12, v32, vcc
	v_or_b32_sdwa v7, v10, v7 dst_sel:WORD_1 dst_unused:UNUSED_PAD src0_sel:BYTE_0 src1_sel:DWORD
	v_cmp_eq_u32_e32 vcc, 0, v20
	v_or_b32_sdwa v4, v4, v7 dst_sel:DWORD dst_unused:UNUSED_PAD src0_sel:WORD_0 src1_sel:DWORD
	s_or_b64 s[50:51], vcc, s[50:51]
	global_store_dword v[8:9], v4, off
	s_andn2_b64 exec, exec, s[50:51]
	s_cbranch_execnz .LBB19_1090
; %bb.1091:
	s_or_b64 exec, exec, s[50:51]
	v_cmp_ne_u32_e32 vcc, v1, v3
	v_add_u32_e32 v2, v2, v3
	s_orn2_b64 s[0:1], vcc, exec
	s_mov_b64 s[62:63], s[90:91]
	s_mov_b64 s[66:67], s[94:95]
	s_mov_b32 s94, s82
	s_mov_b32 s91, s83
	;; [unrolled: 1-line block ×3, first 2 shown]
.LBB19_1092:
	s_or_b64 exec, exec, s[48:49]
	s_and_b64 exec, exec, s[0:1]
	s_cbranch_execz .LBB19_1111
; %bb.1093:
	s_lshl_b64 s[0:1], s[40:41], 1
	s_add_u32 s0, s88, s0
	s_addc_u32 s1, s89, s1
	v_ashrrev_i32_e32 v3, 31, v2
	s_add_u32 s0, s62, s0
	v_lshlrev_b64 v[6:7], 1, v[2:3]
	s_addc_u32 s1, s63, s1
	s_lshl_b32 s19, s86, 1
	v_add_co_u32_e32 v6, vcc, s0, v6
	s_add_u32 s0, s40, s94
	v_mov_b32_e32 v1, s1
	s_addc_u32 s1, s41, s87
	s_add_u32 s0, s0, s58
	s_addc_u32 s1, s1, s91
	s_add_u32 s0, s66, s0
	v_addc_co_u32_e32 v7, vcc, v1, v7, vcc
	s_addc_u32 s1, s67, s1
	v_mov_b32_e32 v4, s1
	v_add_co_u32_e32 v1, vcc, s0, v2
	s_mov_b32 s18, 0
	v_mov_b32_e32 v5, 0
	v_addc_co_u32_e32 v3, vcc, v4, v3, vcc
	s_mov_b64 s[2:3], 0
	s_movk_i32 s20, 0x80
	s_mov_b64 s[4:5], 0x7f800000
	s_mov_b64 s[6:7], 0x43e00001
	s_movk_i32 s21, 0x7a
	s_mov_b64 s[8:9], 0xffffff
	s_movk_i32 s22, 0x7f
	v_mov_b32_e32 v10, 0xffffff82
	v_mov_b32_e32 v11, 0x78
	s_mov_b64 s[10:11], 0
	s_branch .LBB19_1095
.LBB19_1094:                            ;   in Loop: Header=BB19_1095 Depth=1
	s_or_b64 exec, exec, s[0:1]
	v_mov_b32_e32 v4, s11
	v_add_co_u32_e32 v12, vcc, s10, v1
	s_add_u32 s10, s10, s86
	v_addc_co_u32_e32 v13, vcc, v3, v4, vcc
	v_add_u32_e32 v4, s10, v2
	s_addc_u32 s11, s11, 0
	v_cmp_le_i32_e32 vcc, s43, v4
	v_mov_b32_e32 v8, s18
	s_or_b64 s[2:3], vcc, s[2:3]
	v_add_co_u32_e32 v6, vcc, s19, v6
	v_addc_co_u32_e32 v7, vcc, v7, v8, vcc
	global_store_byte v[12:13], v9, off
	s_andn2_b64 exec, exec, s[2:3]
	s_cbranch_execz .LBB19_1111
.LBB19_1095:                            ; =>This Inner Loop Header: Depth=1
	global_load_ushort v4, v[6:7], off
	v_mov_b32_e32 v15, v5
	s_waitcnt vmcnt(0)
	v_lshlrev_b32_e32 v4, 16, v4
	v_div_scale_f32 v8, s[0:1], s33, s33, v4
	v_rcp_f32_e32 v9, v8
	v_div_scale_f32 v12, vcc, v4, s33, v4
	v_fma_f32 v13, -v8, v9, 1.0
	v_fmac_f32_e32 v9, v13, v9
	v_mul_f32_e32 v13, v12, v9
	v_fma_f32 v14, -v8, v13, v12
	v_fmac_f32_e32 v13, v14, v9
	v_fma_f32 v8, -v8, v13, v12
	v_div_fmas_f32 v8, v8, v9, v13
	v_div_fixup_f32 v8, v8, s33, v4
	v_and_b32_sdwa v12, v8, s20 dst_sel:DWORD dst_unused:UNUSED_PAD src0_sel:BYTE_3 src1_sel:DWORD
	v_and_b32_e32 v14, 0x7f800000, v8
	v_and_b32_e32 v4, 0x7fffff, v8
	v_or_b32_e32 v9, 0x7e, v12
	v_cmp_ne_u64_e32 vcc, s[4:5], v[14:15]
	s_and_saveexec_b64 s[0:1], vcc
	s_xor_b64 s[12:13], exec, s[0:1]
	s_cbranch_execz .LBB19_1109
; %bb.1096:                             ;   in Loop: Header=BB19_1095 Depth=1
	v_and_b32_e32 v14, 0x7fffffff, v8
	v_mov_b32_e32 v15, v5
	v_cmp_gt_u64_e32 vcc, s[6:7], v[14:15]
	s_and_saveexec_b64 s[0:1], vcc
	s_xor_b64 s[14:15], exec, s[0:1]
	s_cbranch_execz .LBB19_1108
; %bb.1097:                             ;   in Loop: Header=BB19_1095 Depth=1
	v_cmp_ne_u32_e32 vcc, 0, v8
	v_mov_b32_e32 v9, 0
	s_and_saveexec_b64 s[16:17], vcc
	s_cbranch_execz .LBB19_1107
; %bb.1098:                             ;   in Loop: Header=BB19_1095 Depth=1
	v_bfe_u32 v8, v8, 23, 8
	v_sub_u32_e32 v13, 0x79, v8
	v_cmp_gt_u32_e32 vcc, s21, v8
	v_cndmask_b32_e32 v13, 0, v13, vcc
	v_cmp_eq_u32_e32 vcc, 0, v8
	v_cndmask_b32_e32 v13, v13, v11, vcc
	v_add_u32_e32 v9, 0xffffff81, v8
	v_or_b32_e32 v14, 0x800000, v4
	v_add_u32_e32 v8, 20, v13
	v_cndmask_b32_e32 v15, v9, v10, vcc
	v_cndmask_b32_e32 v4, v14, v4, vcc
	v_lshlrev_b64 v[8:9], v8, -1
	v_not_b32_e32 v8, v8
	v_lshrrev_b64 v[18:19], v13, v[4:5]
	v_not_b32_e32 v9, v9
	v_and_b32_e32 v8, v4, v8
	v_add_u32_e32 v14, 19, v13
	v_lshrrev_b32_e32 v4, 23, v18
	v_and_b32_e32 v9, 0, v9
	v_lshlrev_b64 v[16:17], v14, 1
	v_add3_u32 v14, v13, v15, v4
	v_bfe_u32 v4, v18, 20, 1
	v_add_u32_e32 v4, -1, v4
	v_cmp_eq_u64_e32 vcc, v[8:9], v[16:17]
	v_cndmask_b32_e32 v4, 0, v4, vcc
	v_add_u32_e32 v4, v4, v18
	v_and_b32_e32 v4, 0xfffff, v4
	v_add_co_u32_e32 v8, vcc, v4, v18
	v_add_u32_e32 v13, 6, v14
	v_addc_co_u32_e32 v9, vcc, 0, v19, vcc
	v_cmp_ne_u32_e32 vcc, 0, v13
                                        ; implicit-def: $vgpr4
	s_and_saveexec_b64 s[0:1], vcc
	s_xor_b64 s[0:1], exec, s[0:1]
; %bb.1099:                             ;   in Loop: Header=BB19_1095 Depth=1
	v_add_u32_e32 v4, 7, v14
	v_cmp_lt_u64_e32 vcc, s[8:9], v[8:9]
	v_cndmask_b32_e32 v4, v13, v4, vcc
	v_cndmask_b32_e64 v13, 0, 1, vcc
	v_lshrrev_b64 v[8:9], v13, v[8:9]
; %bb.1100:                             ;   in Loop: Header=BB19_1095 Depth=1
	s_andn2_saveexec_b64 s[0:1], s[0:1]
; %bb.1101:                             ;   in Loop: Header=BB19_1095 Depth=1
	v_bfe_u32 v4, v8, 23, 1
; %bb.1102:                             ;   in Loop: Header=BB19_1095 Depth=1
	s_or_b64 exec, exec, s[0:1]
	v_lshrrev_b64 v[8:9], 20, v[8:9]
	v_cmp_gt_i32_e32 vcc, 16, v4
	v_cndmask_b32_e32 v9, 0, v9, vcc
	v_cndmask_b32_e32 v8, 7, v8, vcc
	v_cmp_ne_u32_e32 vcc, 0, v4
	v_cmp_ne_u64_e64 s[0:1], 0, v[8:9]
	s_or_b64 s[0:1], vcc, s[0:1]
                                        ; implicit-def: $vgpr9
	s_and_saveexec_b64 s[24:25], s[0:1]
	s_xor_b64 s[0:1], exec, s[24:25]
; %bb.1103:                             ;   in Loop: Header=BB19_1095 Depth=1
	v_min_i32_e32 v4, 15, v4
	v_lshl_or_b32 v4, v4, 3, v12
	v_and_or_b32 v9, v8, 7, v4
                                        ; implicit-def: $vgpr12
; %bb.1104:                             ;   in Loop: Header=BB19_1095 Depth=1
	s_andn2_saveexec_b64 s[0:1], s[0:1]
; %bb.1105:                             ;   in Loop: Header=BB19_1095 Depth=1
	v_mov_b32_e32 v9, v12
; %bb.1106:                             ;   in Loop: Header=BB19_1095 Depth=1
	s_or_b64 exec, exec, s[0:1]
.LBB19_1107:                            ;   in Loop: Header=BB19_1095 Depth=1
	s_or_b64 exec, exec, s[16:17]
.LBB19_1108:                            ;   in Loop: Header=BB19_1095 Depth=1
	s_andn2_saveexec_b64 s[0:1], s[14:15]
	s_or_b64 exec, exec, s[0:1]
                                        ; implicit-def: $vgpr8
.LBB19_1109:                            ;   in Loop: Header=BB19_1095 Depth=1
	s_andn2_saveexec_b64 s[0:1], s[12:13]
	s_cbranch_execz .LBB19_1094
; %bb.1110:                             ;   in Loop: Header=BB19_1095 Depth=1
	v_or_b32_sdwa v8, v8, s22 dst_sel:DWORD dst_unused:UNUSED_PAD src0_sel:BYTE_3 src1_sel:DWORD
	v_cmp_eq_u64_e32 vcc, 0, v[4:5]
	v_cndmask_b32_e32 v9, v8, v9, vcc
	s_branch .LBB19_1094
.LBB19_1111:
	s_or_b64 exec, exec, s[44:45]
	s_mov_b64 s[0:1], 0
.LBB19_1112:
	s_and_b64 vcc, exec, s[0:1]
	s_cbranch_vccz .LBB19_1244
; %bb.1113:
	s_ashr_i32 s16, s42, 3
	v_cmp_gt_i32_e32 vcc, s16, v0
	s_and_saveexec_b64 s[0:1], vcc
	s_cbranch_execz .LBB19_1244
; %bb.1114:
	s_add_u32 s0, s94, s58
	s_addc_u32 s1, s87, s91
	s_add_u32 s0, s66, s0
	v_lshlrev_b32_e32 v1, 3, v0
	s_addc_u32 s1, s67, s1
	s_lshl_b32 s18, s86, 3
	v_mov_b32_e32 v2, s1
	v_add_co_u32_e32 v6, vcc, s0, v1
	s_add_u32 s0, s62, s88
	v_addc_co_u32_e32 v7, vcc, 0, v2, vcc
	v_lshlrev_b32_e32 v1, 4, v0
	s_addc_u32 s1, s63, s89
	s_mov_b32 s17, 0
	v_mov_b32_e32 v2, s1
	v_add_co_u32_e32 v8, vcc, s0, v1
	v_addc_co_u32_e32 v9, vcc, 0, v2, vcc
	s_lshl_b32 s19, s86, 4
	s_mov_b32 s20, s17
	s_mov_b64 s[2:3], 0
	v_mov_b32_e32 v11, 0
	s_movk_i32 s21, 0x80
	s_mov_b64 s[4:5], 0x7f800000
	s_mov_b64 s[6:7], 0x43e00001
	s_movk_i32 s22, 0x7a
	s_mov_b64 s[8:9], 0xffffff
	s_movk_i32 s23, 0x7f
	s_mov_b32 s24, 0xff00
	s_mov_b32 s25, 0x4020c0c
	v_mov_b32_e32 v1, 0xffffff82
	v_mov_b32_e32 v28, 0x78
	s_branch .LBB19_1116
.LBB19_1115:                            ;   in Loop: Header=BB19_1116 Depth=1
	s_or_b64 exec, exec, s[0:1]
	v_lshlrev_b32_e32 v4, 16, v22
	v_lshlrev_b32_e32 v3, 24, v24
	v_and_b32_e32 v4, 0xff0000, v4
	v_or_b32_e32 v3, v3, v4
	v_lshlrev_b32_e32 v4, 8, v20
	v_and_b32_e32 v4, 0xff00, v4
	v_and_b32_e32 v5, 0xff, v18
	v_or3_b32 v3, v3, v4, v5
	v_lshlrev_b32_e32 v4, 16, v16
	v_lshlrev_b32_e32 v5, 8, v14
	v_perm_b32 v2, v2, v4, s25
	v_and_or_b32 v2, v5, s24, v2
	v_or_b32_sdwa v2, v2, v12 dst_sel:DWORD dst_unused:UNUSED_PAD src0_sel:DWORD src1_sel:BYTE_0
	global_store_dwordx2 v[6:7], v[2:3], off
	v_mov_b32_e32 v2, s17
	v_add_co_u32_e32 v6, vcc, s18, v6
	v_add_u32_e32 v0, s86, v0
	v_addc_co_u32_e32 v7, vcc, v7, v2, vcc
	v_cmp_le_i32_e32 vcc, s16, v0
	v_mov_b32_e32 v2, s20
	s_or_b64 s[2:3], vcc, s[2:3]
	v_add_co_u32_e32 v8, vcc, s19, v8
	v_addc_co_u32_e32 v9, vcc, v9, v2, vcc
	s_andn2_b64 exec, exec, s[2:3]
	s_cbranch_execz .LBB19_1244
.LBB19_1116:                            ; =>This Inner Loop Header: Depth=1
	global_load_dwordx4 v[2:5], v[8:9], off
	v_mov_b32_e32 v17, v11
	s_waitcnt vmcnt(0)
	v_lshlrev_b32_e32 v10, 16, v2
	v_div_scale_f32 v12, s[0:1], s33, s33, v10
	v_rcp_f32_e32 v13, v12
	v_div_scale_f32 v14, vcc, v10, s33, v10
	v_fma_f32 v15, -v12, v13, 1.0
	v_fmac_f32_e32 v13, v15, v13
	v_mul_f32_e32 v15, v14, v13
	v_fma_f32 v16, -v12, v15, v14
	v_fmac_f32_e32 v15, v16, v13
	v_fma_f32 v12, -v12, v15, v14
	v_div_fmas_f32 v12, v12, v13, v15
	v_div_fixup_f32 v15, v12, s33, v10
	v_and_b32_sdwa v14, v15, s21 dst_sel:DWORD dst_unused:UNUSED_PAD src0_sel:BYTE_3 src1_sel:DWORD
	v_and_b32_e32 v16, 0x7f800000, v15
	v_and_b32_e32 v10, 0x7fffff, v15
	v_or_b32_e32 v12, 0x7e, v14
	v_cmp_ne_u64_e32 vcc, s[4:5], v[16:17]
	s_and_saveexec_b64 s[0:1], vcc
	s_xor_b64 s[10:11], exec, s[0:1]
	s_cbranch_execz .LBB19_1130
; %bb.1117:                             ;   in Loop: Header=BB19_1116 Depth=1
	v_and_b32_e32 v16, 0x7fffffff, v15
	v_mov_b32_e32 v17, v11
	v_cmp_gt_u64_e32 vcc, s[6:7], v[16:17]
	s_and_saveexec_b64 s[0:1], vcc
	s_xor_b64 s[12:13], exec, s[0:1]
	s_cbranch_execz .LBB19_1129
; %bb.1118:                             ;   in Loop: Header=BB19_1116 Depth=1
	v_cmp_ne_u32_e32 vcc, 0, v15
	v_pk_mov_b32 v[12:13], 0, 0
	s_and_saveexec_b64 s[14:15], vcc
	s_cbranch_execz .LBB19_1128
; %bb.1119:                             ;   in Loop: Header=BB19_1116 Depth=1
	v_bfe_u32 v12, v15, 23, 8
	v_sub_u32_e32 v15, 0x79, v12
	v_cmp_gt_u32_e32 vcc, s22, v12
	v_cndmask_b32_e32 v15, 0, v15, vcc
	v_cmp_eq_u32_e32 vcc, 0, v12
	v_cndmask_b32_e32 v15, v15, v28, vcc
	v_add_u32_e32 v13, 0xffffff81, v12
	v_or_b32_e32 v16, 0x800000, v10
	v_add_u32_e32 v12, 20, v15
	v_cndmask_b32_e32 v17, v13, v1, vcc
	v_cndmask_b32_e32 v10, v16, v10, vcc
	v_lshlrev_b64 v[12:13], v12, -1
	v_not_b32_e32 v12, v12
	v_lshrrev_b64 v[20:21], v15, v[10:11]
	v_not_b32_e32 v13, v13
	v_and_b32_e32 v12, v10, v12
	v_add_u32_e32 v16, 19, v15
	v_lshrrev_b32_e32 v10, 23, v20
	v_and_b32_e32 v13, 0, v13
	v_lshlrev_b64 v[18:19], v16, 1
	v_add3_u32 v16, v15, v17, v10
	v_bfe_u32 v10, v20, 20, 1
	v_add_u32_e32 v10, -1, v10
	v_cmp_eq_u64_e32 vcc, v[12:13], v[18:19]
	v_cndmask_b32_e32 v10, 0, v10, vcc
	v_add_u32_e32 v10, v10, v20
	v_and_b32_e32 v10, 0xfffff, v10
	v_add_co_u32_e32 v12, vcc, v10, v20
	v_add_u32_e32 v15, 6, v16
	v_addc_co_u32_e32 v13, vcc, 0, v21, vcc
	v_cmp_ne_u32_e32 vcc, 0, v15
                                        ; implicit-def: $vgpr10
	s_and_saveexec_b64 s[0:1], vcc
	s_xor_b64 s[0:1], exec, s[0:1]
; %bb.1120:                             ;   in Loop: Header=BB19_1116 Depth=1
	v_add_u32_e32 v10, 7, v16
	v_cmp_lt_u64_e32 vcc, s[8:9], v[12:13]
	v_cndmask_b32_e32 v10, v15, v10, vcc
	v_cndmask_b32_e64 v15, 0, 1, vcc
	v_lshrrev_b64 v[12:13], v15, v[12:13]
; %bb.1121:                             ;   in Loop: Header=BB19_1116 Depth=1
	s_andn2_saveexec_b64 s[0:1], s[0:1]
; %bb.1122:                             ;   in Loop: Header=BB19_1116 Depth=1
	v_bfe_u32 v10, v12, 23, 1
; %bb.1123:                             ;   in Loop: Header=BB19_1116 Depth=1
	s_or_b64 exec, exec, s[0:1]
	v_lshrrev_b64 v[12:13], 20, v[12:13]
	v_cmp_gt_i32_e32 vcc, 16, v10
	v_cndmask_b32_e32 v17, 0, v13, vcc
	v_cndmask_b32_e32 v16, 7, v12, vcc
	v_cmp_ne_u32_e32 vcc, 0, v10
	v_cmp_ne_u64_e64 s[0:1], 0, v[16:17]
	s_or_b64 s[0:1], vcc, s[0:1]
                                        ; implicit-def: $vgpr12_vgpr13
	s_and_saveexec_b64 s[26:27], s[0:1]
	s_xor_b64 s[0:1], exec, s[26:27]
; %bb.1124:                             ;   in Loop: Header=BB19_1116 Depth=1
	v_min_i32_e32 v10, 15, v10
	v_lshl_or_b32 v10, v10, 3, v14
	v_and_or_b32 v12, v16, 7, v10
                                        ; implicit-def: $vgpr14
; %bb.1125:                             ;   in Loop: Header=BB19_1116 Depth=1
	s_andn2_saveexec_b64 s[0:1], s[0:1]
; %bb.1126:                             ;   in Loop: Header=BB19_1116 Depth=1
	v_pk_mov_b32 v[12:13], v[14:15], v[14:15] op_sel:[0,1]
; %bb.1127:                             ;   in Loop: Header=BB19_1116 Depth=1
	s_or_b64 exec, exec, s[0:1]
.LBB19_1128:                            ;   in Loop: Header=BB19_1116 Depth=1
	s_or_b64 exec, exec, s[14:15]
.LBB19_1129:                            ;   in Loop: Header=BB19_1116 Depth=1
	s_andn2_saveexec_b64 s[0:1], s[12:13]
	s_or_b64 exec, exec, s[0:1]
                                        ; implicit-def: $vgpr15
.LBB19_1130:                            ;   in Loop: Header=BB19_1116 Depth=1
	s_andn2_saveexec_b64 s[0:1], s[10:11]
; %bb.1131:                             ;   in Loop: Header=BB19_1116 Depth=1
	v_or_b32_sdwa v13, v15, s23 dst_sel:DWORD dst_unused:UNUSED_PAD src0_sel:BYTE_3 src1_sel:DWORD
	v_cmp_eq_u64_e32 vcc, 0, v[10:11]
	v_cndmask_b32_e32 v12, v13, v12, vcc
; %bb.1132:                             ;   in Loop: Header=BB19_1116 Depth=1
	s_or_b64 exec, exec, s[0:1]
	v_and_b32_e32 v2, 0xffff0000, v2
	v_div_scale_f32 v10, s[0:1], s33, s33, v2
	v_rcp_f32_e32 v13, v10
	v_div_scale_f32 v14, vcc, v2, s33, v2
	v_mov_b32_e32 v17, v11
	v_fma_f32 v15, -v10, v13, 1.0
	v_fmac_f32_e32 v13, v15, v13
	v_mul_f32_e32 v15, v14, v13
	v_fma_f32 v16, -v10, v15, v14
	v_fmac_f32_e32 v15, v16, v13
	v_fma_f32 v10, -v10, v15, v14
	v_div_fmas_f32 v10, v10, v13, v15
	v_div_fixup_f32 v13, v10, s33, v2
	v_and_b32_sdwa v2, v13, s21 dst_sel:DWORD dst_unused:UNUSED_PAD src0_sel:BYTE_3 src1_sel:DWORD
	v_and_b32_e32 v16, 0x7f800000, v13
	v_and_b32_e32 v10, 0x7fffff, v13
	v_or_b32_e32 v14, 0x7e, v2
	v_cmp_ne_u64_e32 vcc, s[4:5], v[16:17]
	s_and_saveexec_b64 s[0:1], vcc
	s_xor_b64 s[10:11], exec, s[0:1]
	s_cbranch_execz .LBB19_1146
; %bb.1133:                             ;   in Loop: Header=BB19_1116 Depth=1
	v_and_b32_e32 v16, 0x7fffffff, v13
	v_mov_b32_e32 v17, v11
	v_cmp_gt_u64_e32 vcc, s[6:7], v[16:17]
	s_and_saveexec_b64 s[0:1], vcc
	s_xor_b64 s[12:13], exec, s[0:1]
	s_cbranch_execz .LBB19_1145
; %bb.1134:                             ;   in Loop: Header=BB19_1116 Depth=1
	v_cmp_ne_u32_e32 vcc, 0, v13
	v_pk_mov_b32 v[14:15], 0, 0
	s_and_saveexec_b64 s[14:15], vcc
	s_cbranch_execz .LBB19_1144
; %bb.1135:                             ;   in Loop: Header=BB19_1116 Depth=1
	v_bfe_u32 v13, v13, 23, 8
	v_sub_u32_e32 v15, 0x79, v13
	v_cmp_gt_u32_e32 vcc, s22, v13
	v_cndmask_b32_e32 v15, 0, v15, vcc
	v_cmp_eq_u32_e32 vcc, 0, v13
	v_add_u32_e32 v14, 0xffffff81, v13
	v_cndmask_b32_e32 v17, v15, v28, vcc
	v_or_b32_e32 v16, 0x800000, v10
	v_cndmask_b32_e32 v13, v14, v1, vcc
	v_add_u32_e32 v14, 20, v17
	v_cndmask_b32_e32 v10, v16, v10, vcc
	v_lshlrev_b64 v[14:15], v14, -1
	v_not_b32_e32 v14, v14
	v_lshrrev_b64 v[20:21], v17, v[10:11]
	v_not_b32_e32 v15, v15
	v_and_b32_e32 v14, v10, v14
	v_add_u32_e32 v16, 19, v17
	v_lshrrev_b32_e32 v10, 23, v20
	v_and_b32_e32 v15, 0, v15
	v_lshlrev_b64 v[18:19], v16, 1
	v_add3_u32 v16, v17, v13, v10
	v_bfe_u32 v10, v20, 20, 1
	v_add_u32_e32 v10, -1, v10
	v_cmp_eq_u64_e32 vcc, v[14:15], v[18:19]
	v_cndmask_b32_e32 v10, 0, v10, vcc
	v_add_u32_e32 v10, v10, v20
	v_and_b32_e32 v10, 0xfffff, v10
	v_add_co_u32_e32 v14, vcc, v10, v20
	v_add_u32_e32 v13, 6, v16
	v_addc_co_u32_e32 v15, vcc, 0, v21, vcc
	v_cmp_ne_u32_e32 vcc, 0, v13
                                        ; implicit-def: $vgpr10
	s_and_saveexec_b64 s[0:1], vcc
	s_xor_b64 s[0:1], exec, s[0:1]
; %bb.1136:                             ;   in Loop: Header=BB19_1116 Depth=1
	v_add_u32_e32 v10, 7, v16
	v_cmp_lt_u64_e32 vcc, s[8:9], v[14:15]
	v_cndmask_b32_e32 v10, v13, v10, vcc
	v_cndmask_b32_e64 v13, 0, 1, vcc
	v_lshrrev_b64 v[14:15], v13, v[14:15]
; %bb.1137:                             ;   in Loop: Header=BB19_1116 Depth=1
	s_andn2_saveexec_b64 s[0:1], s[0:1]
; %bb.1138:                             ;   in Loop: Header=BB19_1116 Depth=1
	v_bfe_u32 v10, v14, 23, 1
; %bb.1139:                             ;   in Loop: Header=BB19_1116 Depth=1
	s_or_b64 exec, exec, s[0:1]
	v_lshrrev_b64 v[14:15], 20, v[14:15]
	v_cmp_gt_i32_e32 vcc, 16, v10
	v_cndmask_b32_e32 v17, 0, v15, vcc
	v_cndmask_b32_e32 v16, 7, v14, vcc
	v_cmp_ne_u32_e32 vcc, 0, v10
	v_cmp_ne_u64_e64 s[0:1], 0, v[16:17]
	s_or_b64 s[0:1], vcc, s[0:1]
                                        ; implicit-def: $vgpr14_vgpr15
	s_and_saveexec_b64 s[26:27], s[0:1]
	s_xor_b64 s[0:1], exec, s[26:27]
; %bb.1140:                             ;   in Loop: Header=BB19_1116 Depth=1
	v_min_i32_e32 v10, 15, v10
	v_lshl_or_b32 v2, v10, 3, v2
	v_and_or_b32 v14, v16, 7, v2
                                        ; implicit-def: $vgpr2
; %bb.1141:                             ;   in Loop: Header=BB19_1116 Depth=1
	s_andn2_saveexec_b64 s[0:1], s[0:1]
; %bb.1142:                             ;   in Loop: Header=BB19_1116 Depth=1
	v_pk_mov_b32 v[14:15], v[2:3], v[2:3] op_sel:[0,1]
; %bb.1143:                             ;   in Loop: Header=BB19_1116 Depth=1
	s_or_b64 exec, exec, s[0:1]
.LBB19_1144:                            ;   in Loop: Header=BB19_1116 Depth=1
	s_or_b64 exec, exec, s[14:15]
.LBB19_1145:                            ;   in Loop: Header=BB19_1116 Depth=1
	s_andn2_saveexec_b64 s[0:1], s[12:13]
	s_or_b64 exec, exec, s[0:1]
                                        ; implicit-def: $vgpr13
.LBB19_1146:                            ;   in Loop: Header=BB19_1116 Depth=1
	s_andn2_saveexec_b64 s[0:1], s[10:11]
; %bb.1147:                             ;   in Loop: Header=BB19_1116 Depth=1
	v_or_b32_sdwa v2, v13, s23 dst_sel:DWORD dst_unused:UNUSED_PAD src0_sel:BYTE_3 src1_sel:DWORD
	v_cmp_eq_u64_e32 vcc, 0, v[10:11]
	v_cndmask_b32_e32 v14, v2, v14, vcc
; %bb.1148:                             ;   in Loop: Header=BB19_1116 Depth=1
	s_or_b64 exec, exec, s[0:1]
	v_lshlrev_b32_e32 v2, 16, v3
	v_div_scale_f32 v10, s[0:1], s33, s33, v2
	v_rcp_f32_e32 v13, v10
	v_div_scale_f32 v15, vcc, v2, s33, v2
	v_mov_b32_e32 v19, v11
	v_fma_f32 v16, -v10, v13, 1.0
	v_fmac_f32_e32 v13, v16, v13
	v_mul_f32_e32 v16, v15, v13
	v_fma_f32 v17, -v10, v16, v15
	v_fmac_f32_e32 v16, v17, v13
	v_fma_f32 v10, -v10, v16, v15
	v_div_fmas_f32 v10, v10, v13, v16
	v_div_fixup_f32 v13, v10, s33, v2
	v_and_b32_sdwa v2, v13, s21 dst_sel:DWORD dst_unused:UNUSED_PAD src0_sel:BYTE_3 src1_sel:DWORD
	v_and_b32_e32 v18, 0x7f800000, v13
	v_and_b32_e32 v10, 0x7fffff, v13
	v_or_b32_e32 v16, 0x7e, v2
	v_cmp_ne_u64_e32 vcc, s[4:5], v[18:19]
	s_and_saveexec_b64 s[0:1], vcc
	s_xor_b64 s[10:11], exec, s[0:1]
	s_cbranch_execz .LBB19_1162
; %bb.1149:                             ;   in Loop: Header=BB19_1116 Depth=1
	v_and_b32_e32 v18, 0x7fffffff, v13
	v_mov_b32_e32 v19, v11
	v_cmp_gt_u64_e32 vcc, s[6:7], v[18:19]
	s_and_saveexec_b64 s[0:1], vcc
	s_xor_b64 s[12:13], exec, s[0:1]
	s_cbranch_execz .LBB19_1161
; %bb.1150:                             ;   in Loop: Header=BB19_1116 Depth=1
	v_cmp_ne_u32_e32 vcc, 0, v13
	v_pk_mov_b32 v[16:17], 0, 0
	s_and_saveexec_b64 s[14:15], vcc
	s_cbranch_execz .LBB19_1160
; %bb.1151:                             ;   in Loop: Header=BB19_1116 Depth=1
	v_bfe_u32 v13, v13, 23, 8
	v_sub_u32_e32 v16, 0x79, v13
	v_cmp_gt_u32_e32 vcc, s22, v13
	v_add_u32_e32 v15, 0xffffff81, v13
	v_cndmask_b32_e32 v16, 0, v16, vcc
	v_cmp_eq_u32_e32 vcc, 0, v13
	v_cndmask_b32_e32 v13, v15, v1, vcc
	v_cndmask_b32_e32 v15, v16, v28, vcc
	v_or_b32_e32 v17, 0x800000, v10
	v_add_u32_e32 v16, 20, v15
	v_cndmask_b32_e32 v10, v17, v10, vcc
	v_lshlrev_b64 v[16:17], v16, -1
	v_not_b32_e32 v16, v16
	v_lshrrev_b64 v[20:21], v15, v[10:11]
	v_not_b32_e32 v17, v17
	v_and_b32_e32 v16, v10, v16
	v_add_u32_e32 v18, 19, v15
	v_lshrrev_b32_e32 v10, 23, v20
	v_and_b32_e32 v17, 0, v17
	v_lshlrev_b64 v[18:19], v18, 1
	v_add3_u32 v15, v15, v13, v10
	v_bfe_u32 v10, v20, 20, 1
	v_add_u32_e32 v10, -1, v10
	v_cmp_eq_u64_e32 vcc, v[16:17], v[18:19]
	v_cndmask_b32_e32 v10, 0, v10, vcc
	v_add_u32_e32 v10, v10, v20
	v_and_b32_e32 v10, 0xfffff, v10
	v_add_co_u32_e32 v16, vcc, v10, v20
	v_add_u32_e32 v13, 6, v15
	v_addc_co_u32_e32 v17, vcc, 0, v21, vcc
	v_cmp_ne_u32_e32 vcc, 0, v13
                                        ; implicit-def: $vgpr10
	s_and_saveexec_b64 s[0:1], vcc
	s_xor_b64 s[0:1], exec, s[0:1]
; %bb.1152:                             ;   in Loop: Header=BB19_1116 Depth=1
	v_add_u32_e32 v10, 7, v15
	v_cmp_lt_u64_e32 vcc, s[8:9], v[16:17]
	v_cndmask_b32_e32 v10, v13, v10, vcc
	v_cndmask_b32_e64 v13, 0, 1, vcc
	v_lshrrev_b64 v[16:17], v13, v[16:17]
; %bb.1153:                             ;   in Loop: Header=BB19_1116 Depth=1
	s_andn2_saveexec_b64 s[0:1], s[0:1]
; %bb.1154:                             ;   in Loop: Header=BB19_1116 Depth=1
	v_bfe_u32 v10, v16, 23, 1
; %bb.1155:                             ;   in Loop: Header=BB19_1116 Depth=1
	s_or_b64 exec, exec, s[0:1]
	v_lshrrev_b64 v[16:17], 20, v[16:17]
	v_cmp_gt_i32_e32 vcc, 16, v10
	v_cndmask_b32_e32 v19, 0, v17, vcc
	v_cndmask_b32_e32 v18, 7, v16, vcc
	v_cmp_ne_u32_e32 vcc, 0, v10
	v_cmp_ne_u64_e64 s[0:1], 0, v[18:19]
	s_or_b64 s[0:1], vcc, s[0:1]
                                        ; implicit-def: $vgpr16_vgpr17
	s_and_saveexec_b64 s[26:27], s[0:1]
	s_xor_b64 s[0:1], exec, s[26:27]
; %bb.1156:                             ;   in Loop: Header=BB19_1116 Depth=1
	v_min_i32_e32 v10, 15, v10
	v_lshl_or_b32 v2, v10, 3, v2
	v_and_or_b32 v16, v18, 7, v2
                                        ; implicit-def: $vgpr2
; %bb.1157:                             ;   in Loop: Header=BB19_1116 Depth=1
	s_andn2_saveexec_b64 s[0:1], s[0:1]
; %bb.1158:                             ;   in Loop: Header=BB19_1116 Depth=1
	v_pk_mov_b32 v[16:17], v[2:3], v[2:3] op_sel:[0,1]
; %bb.1159:                             ;   in Loop: Header=BB19_1116 Depth=1
	s_or_b64 exec, exec, s[0:1]
.LBB19_1160:                            ;   in Loop: Header=BB19_1116 Depth=1
	s_or_b64 exec, exec, s[14:15]
.LBB19_1161:                            ;   in Loop: Header=BB19_1116 Depth=1
	s_andn2_saveexec_b64 s[0:1], s[12:13]
	s_or_b64 exec, exec, s[0:1]
                                        ; implicit-def: $vgpr13
.LBB19_1162:                            ;   in Loop: Header=BB19_1116 Depth=1
	s_andn2_saveexec_b64 s[0:1], s[10:11]
; %bb.1163:                             ;   in Loop: Header=BB19_1116 Depth=1
	v_or_b32_sdwa v2, v13, s23 dst_sel:DWORD dst_unused:UNUSED_PAD src0_sel:BYTE_3 src1_sel:DWORD
	v_cmp_eq_u64_e32 vcc, 0, v[10:11]
	v_cndmask_b32_e32 v16, v2, v16, vcc
; %bb.1164:                             ;   in Loop: Header=BB19_1116 Depth=1
	s_or_b64 exec, exec, s[0:1]
	v_and_b32_e32 v2, 0xffff0000, v3
	v_div_scale_f32 v3, s[0:1], s33, s33, v2
	v_rcp_f32_e32 v10, v3
	v_div_scale_f32 v13, vcc, v2, s33, v2
	v_mov_b32_e32 v21, v11
	v_fma_f32 v15, -v3, v10, 1.0
	v_fmac_f32_e32 v10, v15, v10
	v_mul_f32_e32 v15, v13, v10
	v_fma_f32 v17, -v3, v15, v13
	v_fmac_f32_e32 v15, v17, v10
	v_fma_f32 v3, -v3, v15, v13
	v_div_fmas_f32 v3, v3, v10, v15
	v_div_fixup_f32 v13, v3, s33, v2
	v_and_b32_sdwa v18, v13, s21 dst_sel:DWORD dst_unused:UNUSED_PAD src0_sel:BYTE_3 src1_sel:DWORD
	v_and_b32_e32 v20, 0x7f800000, v13
	v_and_b32_e32 v10, 0x7fffff, v13
	v_or_b32_e32 v2, 0x7e, v18
	v_cmp_ne_u64_e32 vcc, s[4:5], v[20:21]
	s_and_saveexec_b64 s[0:1], vcc
	s_xor_b64 s[10:11], exec, s[0:1]
	s_cbranch_execz .LBB19_1178
; %bb.1165:                             ;   in Loop: Header=BB19_1116 Depth=1
	v_and_b32_e32 v20, 0x7fffffff, v13
	v_mov_b32_e32 v21, v11
	v_cmp_gt_u64_e32 vcc, s[6:7], v[20:21]
	s_and_saveexec_b64 s[0:1], vcc
	s_xor_b64 s[12:13], exec, s[0:1]
	s_cbranch_execz .LBB19_1177
; %bb.1166:                             ;   in Loop: Header=BB19_1116 Depth=1
	v_cmp_ne_u32_e32 vcc, 0, v13
	v_pk_mov_b32 v[2:3], 0, 0
	s_and_saveexec_b64 s[14:15], vcc
	s_cbranch_execz .LBB19_1176
; %bb.1167:                             ;   in Loop: Header=BB19_1116 Depth=1
	v_bfe_u32 v2, v13, 23, 8
	v_sub_u32_e32 v13, 0x79, v2
	v_cmp_gt_u32_e32 vcc, s22, v2
	v_cndmask_b32_e32 v13, 0, v13, vcc
	v_cmp_eq_u32_e32 vcc, 0, v2
	v_cndmask_b32_e32 v13, v13, v28, vcc
	v_add_u32_e32 v3, 0xffffff81, v2
	v_or_b32_e32 v15, 0x800000, v10
	v_add_u32_e32 v2, 20, v13
	v_cndmask_b32_e32 v17, v3, v1, vcc
	v_cndmask_b32_e32 v10, v15, v10, vcc
	v_lshlrev_b64 v[2:3], v2, -1
	v_not_b32_e32 v2, v2
	v_lshrrev_b64 v[22:23], v13, v[10:11]
	v_not_b32_e32 v3, v3
	v_and_b32_e32 v2, v10, v2
	v_add_u32_e32 v15, 19, v13
	v_lshrrev_b32_e32 v10, 23, v22
	v_and_b32_e32 v3, 0, v3
	v_lshlrev_b64 v[20:21], v15, 1
	v_add3_u32 v15, v13, v17, v10
	v_bfe_u32 v10, v22, 20, 1
	v_add_u32_e32 v10, -1, v10
	v_cmp_eq_u64_e32 vcc, v[2:3], v[20:21]
	v_cndmask_b32_e32 v2, 0, v10, vcc
	v_add_u32_e32 v2, v2, v22
	v_and_b32_e32 v2, 0xfffff, v2
	v_add_co_u32_e32 v2, vcc, v2, v22
	v_add_u32_e32 v13, 6, v15
	v_addc_co_u32_e32 v3, vcc, 0, v23, vcc
	v_cmp_ne_u32_e32 vcc, 0, v13
                                        ; implicit-def: $vgpr10
	s_and_saveexec_b64 s[0:1], vcc
	s_xor_b64 s[0:1], exec, s[0:1]
; %bb.1168:                             ;   in Loop: Header=BB19_1116 Depth=1
	v_add_u32_e32 v10, 7, v15
	v_cmp_lt_u64_e32 vcc, s[8:9], v[2:3]
	v_cndmask_b32_e32 v10, v13, v10, vcc
	v_cndmask_b32_e64 v13, 0, 1, vcc
	v_lshrrev_b64 v[2:3], v13, v[2:3]
; %bb.1169:                             ;   in Loop: Header=BB19_1116 Depth=1
	s_andn2_saveexec_b64 s[0:1], s[0:1]
; %bb.1170:                             ;   in Loop: Header=BB19_1116 Depth=1
	v_bfe_u32 v10, v2, 23, 1
; %bb.1171:                             ;   in Loop: Header=BB19_1116 Depth=1
	s_or_b64 exec, exec, s[0:1]
	v_lshrrev_b64 v[2:3], 20, v[2:3]
	v_cmp_gt_i32_e32 vcc, 16, v10
	v_cndmask_b32_e32 v21, 0, v3, vcc
	v_cndmask_b32_e32 v20, 7, v2, vcc
	v_cmp_ne_u32_e32 vcc, 0, v10
	v_cmp_ne_u64_e64 s[0:1], 0, v[20:21]
	s_or_b64 s[0:1], vcc, s[0:1]
                                        ; implicit-def: $vgpr2_vgpr3
	s_and_saveexec_b64 s[26:27], s[0:1]
	s_xor_b64 s[0:1], exec, s[26:27]
; %bb.1172:                             ;   in Loop: Header=BB19_1116 Depth=1
	v_min_i32_e32 v2, 15, v10
	v_lshl_or_b32 v2, v2, 3, v18
	v_and_or_b32 v2, v20, 7, v2
                                        ; implicit-def: $vgpr18
; %bb.1173:                             ;   in Loop: Header=BB19_1116 Depth=1
	s_andn2_saveexec_b64 s[0:1], s[0:1]
; %bb.1174:                             ;   in Loop: Header=BB19_1116 Depth=1
	v_pk_mov_b32 v[2:3], v[18:19], v[18:19] op_sel:[0,1]
; %bb.1175:                             ;   in Loop: Header=BB19_1116 Depth=1
	s_or_b64 exec, exec, s[0:1]
.LBB19_1176:                            ;   in Loop: Header=BB19_1116 Depth=1
	s_or_b64 exec, exec, s[14:15]
.LBB19_1177:                            ;   in Loop: Header=BB19_1116 Depth=1
	s_andn2_saveexec_b64 s[0:1], s[12:13]
	s_or_b64 exec, exec, s[0:1]
                                        ; implicit-def: $vgpr13
.LBB19_1178:                            ;   in Loop: Header=BB19_1116 Depth=1
	s_andn2_saveexec_b64 s[0:1], s[10:11]
; %bb.1179:                             ;   in Loop: Header=BB19_1116 Depth=1
	v_or_b32_sdwa v3, v13, s23 dst_sel:DWORD dst_unused:UNUSED_PAD src0_sel:BYTE_3 src1_sel:DWORD
	v_cmp_eq_u64_e32 vcc, 0, v[10:11]
	v_cndmask_b32_e32 v2, v3, v2, vcc
; %bb.1180:                             ;   in Loop: Header=BB19_1116 Depth=1
	s_or_b64 exec, exec, s[0:1]
	v_lshlrev_b32_e32 v3, 16, v4
	v_div_scale_f32 v10, s[0:1], s33, s33, v3
	v_rcp_f32_e32 v13, v10
	v_div_scale_f32 v15, vcc, v3, s33, v3
	v_mov_b32_e32 v23, v11
	v_fma_f32 v17, -v10, v13, 1.0
	v_fmac_f32_e32 v13, v17, v13
	v_mul_f32_e32 v17, v15, v13
	v_fma_f32 v18, -v10, v17, v15
	v_fmac_f32_e32 v17, v18, v13
	v_fma_f32 v10, -v10, v17, v15
	v_div_fmas_f32 v10, v10, v13, v17
	v_div_fixup_f32 v3, v10, s33, v3
	v_and_b32_sdwa v20, v3, s21 dst_sel:DWORD dst_unused:UNUSED_PAD src0_sel:BYTE_3 src1_sel:DWORD
	v_and_b32_e32 v22, 0x7f800000, v3
	v_and_b32_e32 v10, 0x7fffff, v3
	v_or_b32_e32 v18, 0x7e, v20
	v_cmp_ne_u64_e32 vcc, s[4:5], v[22:23]
	s_and_saveexec_b64 s[0:1], vcc
	s_xor_b64 s[10:11], exec, s[0:1]
	s_cbranch_execz .LBB19_1194
; %bb.1181:                             ;   in Loop: Header=BB19_1116 Depth=1
	v_and_b32_e32 v22, 0x7fffffff, v3
	v_mov_b32_e32 v23, v11
	v_cmp_gt_u64_e32 vcc, s[6:7], v[22:23]
	s_and_saveexec_b64 s[0:1], vcc
	s_xor_b64 s[12:13], exec, s[0:1]
	s_cbranch_execz .LBB19_1193
; %bb.1182:                             ;   in Loop: Header=BB19_1116 Depth=1
	v_cmp_ne_u32_e32 vcc, 0, v3
	v_pk_mov_b32 v[18:19], 0, 0
	s_and_saveexec_b64 s[14:15], vcc
	s_cbranch_execz .LBB19_1192
; %bb.1183:                             ;   in Loop: Header=BB19_1116 Depth=1
	v_bfe_u32 v3, v3, 23, 8
	v_sub_u32_e32 v15, 0x79, v3
	v_cmp_gt_u32_e32 vcc, s22, v3
	v_add_u32_e32 v13, 0xffffff81, v3
	v_cndmask_b32_e32 v15, 0, v15, vcc
	v_cmp_eq_u32_e32 vcc, 0, v3
	v_cndmask_b32_e32 v3, v13, v1, vcc
	v_cndmask_b32_e32 v13, v15, v28, vcc
	v_or_b32_e32 v17, 0x800000, v10
	v_add_u32_e32 v15, 20, v13
	v_cndmask_b32_e32 v10, v17, v10, vcc
	v_lshlrev_b64 v[18:19], v15, -1
	v_not_b32_e32 v15, v19
	v_not_b32_e32 v17, v18
	v_lshrrev_b64 v[24:25], v13, v[10:11]
	v_and_b32_e32 v19, 0, v15
	v_and_b32_e32 v18, v10, v17
	v_add_u32_e32 v15, 19, v13
	v_lshrrev_b32_e32 v10, 23, v24
	v_lshlrev_b64 v[22:23], v15, 1
	v_add3_u32 v13, v13, v3, v10
	v_bfe_u32 v3, v24, 20, 1
	v_add_u32_e32 v3, -1, v3
	v_cmp_eq_u64_e32 vcc, v[18:19], v[22:23]
	v_cndmask_b32_e32 v3, 0, v3, vcc
	v_add_u32_e32 v3, v3, v24
	v_and_b32_e32 v3, 0xfffff, v3
	v_add_co_u32_e32 v18, vcc, v3, v24
	v_add_u32_e32 v10, 6, v13
	v_addc_co_u32_e32 v19, vcc, 0, v25, vcc
	v_cmp_ne_u32_e32 vcc, 0, v10
                                        ; implicit-def: $vgpr3
	s_and_saveexec_b64 s[0:1], vcc
	s_xor_b64 s[0:1], exec, s[0:1]
; %bb.1184:                             ;   in Loop: Header=BB19_1116 Depth=1
	v_add_u32_e32 v3, 7, v13
	v_cmp_lt_u64_e32 vcc, s[8:9], v[18:19]
	v_cndmask_b32_e32 v3, v10, v3, vcc
	v_cndmask_b32_e64 v10, 0, 1, vcc
	v_lshrrev_b64 v[18:19], v10, v[18:19]
; %bb.1185:                             ;   in Loop: Header=BB19_1116 Depth=1
	s_andn2_saveexec_b64 s[0:1], s[0:1]
; %bb.1186:                             ;   in Loop: Header=BB19_1116 Depth=1
	v_bfe_u32 v3, v18, 23, 1
; %bb.1187:                             ;   in Loop: Header=BB19_1116 Depth=1
	s_or_b64 exec, exec, s[0:1]
	v_lshrrev_b64 v[18:19], 20, v[18:19]
	v_cmp_gt_i32_e32 vcc, 16, v3
	v_cndmask_b32_e32 v23, 0, v19, vcc
	v_cndmask_b32_e32 v22, 7, v18, vcc
	v_cmp_ne_u32_e32 vcc, 0, v3
	v_cmp_ne_u64_e64 s[0:1], 0, v[22:23]
	s_or_b64 s[0:1], vcc, s[0:1]
                                        ; implicit-def: $vgpr18_vgpr19
	s_and_saveexec_b64 s[26:27], s[0:1]
	s_xor_b64 s[0:1], exec, s[26:27]
; %bb.1188:                             ;   in Loop: Header=BB19_1116 Depth=1
	v_min_i32_e32 v3, 15, v3
	v_lshl_or_b32 v3, v3, 3, v20
	v_and_or_b32 v18, v22, 7, v3
                                        ; implicit-def: $vgpr20
; %bb.1189:                             ;   in Loop: Header=BB19_1116 Depth=1
	s_andn2_saveexec_b64 s[0:1], s[0:1]
; %bb.1190:                             ;   in Loop: Header=BB19_1116 Depth=1
	v_pk_mov_b32 v[18:19], v[20:21], v[20:21] op_sel:[0,1]
; %bb.1191:                             ;   in Loop: Header=BB19_1116 Depth=1
	s_or_b64 exec, exec, s[0:1]
.LBB19_1192:                            ;   in Loop: Header=BB19_1116 Depth=1
	s_or_b64 exec, exec, s[14:15]
.LBB19_1193:                            ;   in Loop: Header=BB19_1116 Depth=1
	s_andn2_saveexec_b64 s[0:1], s[12:13]
	s_or_b64 exec, exec, s[0:1]
                                        ; implicit-def: $vgpr3
.LBB19_1194:                            ;   in Loop: Header=BB19_1116 Depth=1
	s_andn2_saveexec_b64 s[0:1], s[10:11]
; %bb.1195:                             ;   in Loop: Header=BB19_1116 Depth=1
	v_or_b32_sdwa v3, v3, s23 dst_sel:DWORD dst_unused:UNUSED_PAD src0_sel:BYTE_3 src1_sel:DWORD
	v_cmp_eq_u64_e32 vcc, 0, v[10:11]
	v_cndmask_b32_e32 v18, v3, v18, vcc
; %bb.1196:                             ;   in Loop: Header=BB19_1116 Depth=1
	s_or_b64 exec, exec, s[0:1]
	v_and_b32_e32 v3, 0xffff0000, v4
	v_div_scale_f32 v4, s[0:1], s33, s33, v3
	v_rcp_f32_e32 v10, v4
	v_div_scale_f32 v13, vcc, v3, s33, v3
	v_mov_b32_e32 v23, v11
	v_fma_f32 v15, -v4, v10, 1.0
	v_fmac_f32_e32 v10, v15, v10
	v_mul_f32_e32 v15, v13, v10
	v_fma_f32 v17, -v4, v15, v13
	v_fmac_f32_e32 v15, v17, v10
	v_fma_f32 v4, -v4, v15, v13
	v_div_fmas_f32 v4, v4, v10, v15
	v_div_fixup_f32 v3, v4, s33, v3
	v_and_b32_sdwa v4, v3, s21 dst_sel:DWORD dst_unused:UNUSED_PAD src0_sel:BYTE_3 src1_sel:DWORD
	v_and_b32_e32 v22, 0x7f800000, v3
	v_and_b32_e32 v10, 0x7fffff, v3
	v_or_b32_e32 v20, 0x7e, v4
	v_cmp_ne_u64_e32 vcc, s[4:5], v[22:23]
	s_and_saveexec_b64 s[0:1], vcc
	s_xor_b64 s[10:11], exec, s[0:1]
	s_cbranch_execz .LBB19_1210
; %bb.1197:                             ;   in Loop: Header=BB19_1116 Depth=1
	v_and_b32_e32 v22, 0x7fffffff, v3
	v_mov_b32_e32 v23, v11
	v_cmp_gt_u64_e32 vcc, s[6:7], v[22:23]
	s_and_saveexec_b64 s[0:1], vcc
	s_xor_b64 s[12:13], exec, s[0:1]
	s_cbranch_execz .LBB19_1209
; %bb.1198:                             ;   in Loop: Header=BB19_1116 Depth=1
	v_cmp_ne_u32_e32 vcc, 0, v3
	v_pk_mov_b32 v[20:21], 0, 0
	s_and_saveexec_b64 s[14:15], vcc
	s_cbranch_execz .LBB19_1208
; %bb.1199:                             ;   in Loop: Header=BB19_1116 Depth=1
	v_bfe_u32 v3, v3, 23, 8
	v_sub_u32_e32 v15, 0x79, v3
	v_cmp_gt_u32_e32 vcc, s22, v3
	v_add_u32_e32 v13, 0xffffff81, v3
	v_cndmask_b32_e32 v15, 0, v15, vcc
	v_cmp_eq_u32_e32 vcc, 0, v3
	v_cndmask_b32_e32 v3, v13, v1, vcc
	v_cndmask_b32_e32 v13, v15, v28, vcc
	v_or_b32_e32 v17, 0x800000, v10
	v_add_u32_e32 v15, 20, v13
	v_cndmask_b32_e32 v10, v17, v10, vcc
	v_lshlrev_b64 v[20:21], v15, -1
	v_not_b32_e32 v15, v21
	v_not_b32_e32 v17, v20
	v_lshrrev_b64 v[24:25], v13, v[10:11]
	v_and_b32_e32 v21, 0, v15
	v_and_b32_e32 v20, v10, v17
	v_add_u32_e32 v15, 19, v13
	v_lshrrev_b32_e32 v10, 23, v24
	v_lshlrev_b64 v[22:23], v15, 1
	v_add3_u32 v13, v13, v3, v10
	v_bfe_u32 v3, v24, 20, 1
	v_add_u32_e32 v3, -1, v3
	v_cmp_eq_u64_e32 vcc, v[20:21], v[22:23]
	v_cndmask_b32_e32 v3, 0, v3, vcc
	v_add_u32_e32 v3, v3, v24
	v_and_b32_e32 v3, 0xfffff, v3
	v_add_co_u32_e32 v20, vcc, v3, v24
	v_add_u32_e32 v10, 6, v13
	v_addc_co_u32_e32 v21, vcc, 0, v25, vcc
	v_cmp_ne_u32_e32 vcc, 0, v10
                                        ; implicit-def: $vgpr3
	s_and_saveexec_b64 s[0:1], vcc
	s_xor_b64 s[0:1], exec, s[0:1]
; %bb.1200:                             ;   in Loop: Header=BB19_1116 Depth=1
	v_add_u32_e32 v3, 7, v13
	v_cmp_lt_u64_e32 vcc, s[8:9], v[20:21]
	v_cndmask_b32_e32 v3, v10, v3, vcc
	v_cndmask_b32_e64 v10, 0, 1, vcc
	v_lshrrev_b64 v[20:21], v10, v[20:21]
; %bb.1201:                             ;   in Loop: Header=BB19_1116 Depth=1
	s_andn2_saveexec_b64 s[0:1], s[0:1]
; %bb.1202:                             ;   in Loop: Header=BB19_1116 Depth=1
	v_bfe_u32 v3, v20, 23, 1
; %bb.1203:                             ;   in Loop: Header=BB19_1116 Depth=1
	s_or_b64 exec, exec, s[0:1]
	v_lshrrev_b64 v[20:21], 20, v[20:21]
	v_cmp_gt_i32_e32 vcc, 16, v3
	v_cndmask_b32_e32 v23, 0, v21, vcc
	v_cndmask_b32_e32 v22, 7, v20, vcc
	v_cmp_ne_u32_e32 vcc, 0, v3
	v_cmp_ne_u64_e64 s[0:1], 0, v[22:23]
	s_or_b64 s[0:1], vcc, s[0:1]
                                        ; implicit-def: $vgpr20_vgpr21
	s_and_saveexec_b64 s[26:27], s[0:1]
	s_xor_b64 s[0:1], exec, s[26:27]
; %bb.1204:                             ;   in Loop: Header=BB19_1116 Depth=1
	v_min_i32_e32 v3, 15, v3
	v_lshl_or_b32 v3, v3, 3, v4
	v_and_or_b32 v20, v22, 7, v3
                                        ; implicit-def: $vgpr4
; %bb.1205:                             ;   in Loop: Header=BB19_1116 Depth=1
	s_andn2_saveexec_b64 s[0:1], s[0:1]
; %bb.1206:                             ;   in Loop: Header=BB19_1116 Depth=1
	v_pk_mov_b32 v[20:21], v[4:5], v[4:5] op_sel:[0,1]
; %bb.1207:                             ;   in Loop: Header=BB19_1116 Depth=1
	s_or_b64 exec, exec, s[0:1]
.LBB19_1208:                            ;   in Loop: Header=BB19_1116 Depth=1
	s_or_b64 exec, exec, s[14:15]
.LBB19_1209:                            ;   in Loop: Header=BB19_1116 Depth=1
	s_andn2_saveexec_b64 s[0:1], s[12:13]
	s_or_b64 exec, exec, s[0:1]
                                        ; implicit-def: $vgpr3
.LBB19_1210:                            ;   in Loop: Header=BB19_1116 Depth=1
	s_andn2_saveexec_b64 s[0:1], s[10:11]
; %bb.1211:                             ;   in Loop: Header=BB19_1116 Depth=1
	v_or_b32_sdwa v3, v3, s23 dst_sel:DWORD dst_unused:UNUSED_PAD src0_sel:BYTE_3 src1_sel:DWORD
	v_cmp_eq_u64_e32 vcc, 0, v[10:11]
	v_cndmask_b32_e32 v20, v3, v20, vcc
; %bb.1212:                             ;   in Loop: Header=BB19_1116 Depth=1
	s_or_b64 exec, exec, s[0:1]
	v_lshlrev_b32_e32 v3, 16, v5
	v_div_scale_f32 v4, s[0:1], s33, s33, v3
	v_rcp_f32_e32 v10, v4
	v_div_scale_f32 v13, vcc, v3, s33, v3
	v_mov_b32_e32 v25, v11
	v_fma_f32 v15, -v4, v10, 1.0
	v_fmac_f32_e32 v10, v15, v10
	v_mul_f32_e32 v15, v13, v10
	v_fma_f32 v17, -v4, v15, v13
	v_fmac_f32_e32 v15, v17, v10
	v_fma_f32 v4, -v4, v15, v13
	v_div_fmas_f32 v4, v4, v10, v15
	v_div_fixup_f32 v3, v4, s33, v3
	v_and_b32_sdwa v4, v3, s21 dst_sel:DWORD dst_unused:UNUSED_PAD src0_sel:BYTE_3 src1_sel:DWORD
	v_and_b32_e32 v24, 0x7f800000, v3
	v_and_b32_e32 v10, 0x7fffff, v3
	v_or_b32_e32 v22, 0x7e, v4
	v_cmp_ne_u64_e32 vcc, s[4:5], v[24:25]
	s_and_saveexec_b64 s[0:1], vcc
	s_xor_b64 s[10:11], exec, s[0:1]
	s_cbranch_execz .LBB19_1226
; %bb.1213:                             ;   in Loop: Header=BB19_1116 Depth=1
	v_and_b32_e32 v24, 0x7fffffff, v3
	v_mov_b32_e32 v25, v11
	v_cmp_gt_u64_e32 vcc, s[6:7], v[24:25]
	s_and_saveexec_b64 s[0:1], vcc
	s_xor_b64 s[12:13], exec, s[0:1]
	s_cbranch_execz .LBB19_1225
; %bb.1214:                             ;   in Loop: Header=BB19_1116 Depth=1
	v_cmp_ne_u32_e32 vcc, 0, v3
	v_pk_mov_b32 v[22:23], 0, 0
	s_and_saveexec_b64 s[14:15], vcc
	s_cbranch_execz .LBB19_1224
; %bb.1215:                             ;   in Loop: Header=BB19_1116 Depth=1
	v_bfe_u32 v3, v3, 23, 8
	v_sub_u32_e32 v15, 0x79, v3
	v_cmp_gt_u32_e32 vcc, s22, v3
	v_add_u32_e32 v13, 0xffffff81, v3
	v_cndmask_b32_e32 v15, 0, v15, vcc
	v_cmp_eq_u32_e32 vcc, 0, v3
	v_cndmask_b32_e32 v3, v13, v1, vcc
	v_cndmask_b32_e32 v13, v15, v28, vcc
	v_or_b32_e32 v17, 0x800000, v10
	v_add_u32_e32 v15, 20, v13
	v_cndmask_b32_e32 v10, v17, v10, vcc
	v_lshlrev_b64 v[22:23], v15, -1
	v_not_b32_e32 v15, v23
	v_not_b32_e32 v17, v22
	v_lshrrev_b64 v[26:27], v13, v[10:11]
	v_and_b32_e32 v23, 0, v15
	v_and_b32_e32 v22, v10, v17
	v_add_u32_e32 v15, 19, v13
	v_lshrrev_b32_e32 v10, 23, v26
	v_lshlrev_b64 v[24:25], v15, 1
	v_add3_u32 v13, v13, v3, v10
	v_bfe_u32 v3, v26, 20, 1
	v_add_u32_e32 v3, -1, v3
	v_cmp_eq_u64_e32 vcc, v[22:23], v[24:25]
	v_cndmask_b32_e32 v3, 0, v3, vcc
	v_add_u32_e32 v3, v3, v26
	v_and_b32_e32 v3, 0xfffff, v3
	v_add_co_u32_e32 v22, vcc, v3, v26
	v_add_u32_e32 v10, 6, v13
	v_addc_co_u32_e32 v23, vcc, 0, v27, vcc
	v_cmp_ne_u32_e32 vcc, 0, v10
                                        ; implicit-def: $vgpr3
	s_and_saveexec_b64 s[0:1], vcc
	s_xor_b64 s[0:1], exec, s[0:1]
; %bb.1216:                             ;   in Loop: Header=BB19_1116 Depth=1
	v_add_u32_e32 v3, 7, v13
	v_cmp_lt_u64_e32 vcc, s[8:9], v[22:23]
	v_cndmask_b32_e32 v3, v10, v3, vcc
	v_cndmask_b32_e64 v10, 0, 1, vcc
	v_lshrrev_b64 v[22:23], v10, v[22:23]
; %bb.1217:                             ;   in Loop: Header=BB19_1116 Depth=1
	s_andn2_saveexec_b64 s[0:1], s[0:1]
; %bb.1218:                             ;   in Loop: Header=BB19_1116 Depth=1
	v_bfe_u32 v3, v22, 23, 1
; %bb.1219:                             ;   in Loop: Header=BB19_1116 Depth=1
	s_or_b64 exec, exec, s[0:1]
	v_lshrrev_b64 v[22:23], 20, v[22:23]
	v_cmp_gt_i32_e32 vcc, 16, v3
	v_cndmask_b32_e32 v25, 0, v23, vcc
	v_cndmask_b32_e32 v24, 7, v22, vcc
	v_cmp_ne_u32_e32 vcc, 0, v3
	v_cmp_ne_u64_e64 s[0:1], 0, v[24:25]
	s_or_b64 s[0:1], vcc, s[0:1]
                                        ; implicit-def: $vgpr22_vgpr23
	s_and_saveexec_b64 s[26:27], s[0:1]
	s_xor_b64 s[0:1], exec, s[26:27]
; %bb.1220:                             ;   in Loop: Header=BB19_1116 Depth=1
	v_min_i32_e32 v3, 15, v3
	v_lshl_or_b32 v3, v3, 3, v4
	v_and_or_b32 v22, v24, 7, v3
                                        ; implicit-def: $vgpr4
; %bb.1221:                             ;   in Loop: Header=BB19_1116 Depth=1
	s_andn2_saveexec_b64 s[0:1], s[0:1]
; %bb.1222:                             ;   in Loop: Header=BB19_1116 Depth=1
	v_pk_mov_b32 v[22:23], v[4:5], v[4:5] op_sel:[0,1]
; %bb.1223:                             ;   in Loop: Header=BB19_1116 Depth=1
	s_or_b64 exec, exec, s[0:1]
.LBB19_1224:                            ;   in Loop: Header=BB19_1116 Depth=1
	s_or_b64 exec, exec, s[14:15]
.LBB19_1225:                            ;   in Loop: Header=BB19_1116 Depth=1
	s_andn2_saveexec_b64 s[0:1], s[12:13]
	s_or_b64 exec, exec, s[0:1]
                                        ; implicit-def: $vgpr3
.LBB19_1226:                            ;   in Loop: Header=BB19_1116 Depth=1
	s_andn2_saveexec_b64 s[0:1], s[10:11]
; %bb.1227:                             ;   in Loop: Header=BB19_1116 Depth=1
	v_or_b32_sdwa v3, v3, s23 dst_sel:DWORD dst_unused:UNUSED_PAD src0_sel:BYTE_3 src1_sel:DWORD
	v_cmp_eq_u64_e32 vcc, 0, v[10:11]
	v_cndmask_b32_e32 v22, v3, v22, vcc
; %bb.1228:                             ;   in Loop: Header=BB19_1116 Depth=1
	s_or_b64 exec, exec, s[0:1]
	v_and_b32_e32 v3, 0xffff0000, v5
	v_div_scale_f32 v4, s[0:1], s33, s33, v3
	v_rcp_f32_e32 v5, v4
	v_div_scale_f32 v10, vcc, v3, s33, v3
	v_mov_b32_e32 v27, v11
	v_fma_f32 v13, -v4, v5, 1.0
	v_fmac_f32_e32 v5, v13, v5
	v_mul_f32_e32 v13, v10, v5
	v_fma_f32 v15, -v4, v13, v10
	v_fmac_f32_e32 v13, v15, v5
	v_fma_f32 v4, -v4, v13, v10
	v_div_fmas_f32 v4, v4, v5, v13
	v_div_fixup_f32 v3, v4, s33, v3
	v_and_b32_sdwa v4, v3, s21 dst_sel:DWORD dst_unused:UNUSED_PAD src0_sel:BYTE_3 src1_sel:DWORD
	v_and_b32_e32 v26, 0x7f800000, v3
	v_and_b32_e32 v10, 0x7fffff, v3
	v_or_b32_e32 v24, 0x7e, v4
	v_cmp_ne_u64_e32 vcc, s[4:5], v[26:27]
	s_and_saveexec_b64 s[0:1], vcc
	s_xor_b64 s[10:11], exec, s[0:1]
	s_cbranch_execz .LBB19_1242
; %bb.1229:                             ;   in Loop: Header=BB19_1116 Depth=1
	v_and_b32_e32 v26, 0x7fffffff, v3
	v_mov_b32_e32 v27, v11
	v_cmp_gt_u64_e32 vcc, s[6:7], v[26:27]
	s_and_saveexec_b64 s[0:1], vcc
	s_xor_b64 s[12:13], exec, s[0:1]
	s_cbranch_execz .LBB19_1241
; %bb.1230:                             ;   in Loop: Header=BB19_1116 Depth=1
	v_cmp_ne_u32_e32 vcc, 0, v3
	v_pk_mov_b32 v[24:25], 0, 0
	s_and_saveexec_b64 s[14:15], vcc
	s_cbranch_execz .LBB19_1240
; %bb.1231:                             ;   in Loop: Header=BB19_1116 Depth=1
	v_bfe_u32 v3, v3, 23, 8
	v_sub_u32_e32 v13, 0x79, v3
	v_cmp_gt_u32_e32 vcc, s22, v3
	v_add_u32_e32 v5, 0xffffff81, v3
	v_cndmask_b32_e32 v13, 0, v13, vcc
	v_cmp_eq_u32_e32 vcc, 0, v3
	v_cndmask_b32_e32 v3, v5, v1, vcc
	v_cndmask_b32_e32 v5, v13, v28, vcc
	v_or_b32_e32 v15, 0x800000, v10
	v_add_u32_e32 v13, 20, v5
	v_cndmask_b32_e32 v10, v15, v10, vcc
	v_lshlrev_b64 v[24:25], v13, -1
	v_not_b32_e32 v13, v25
	v_not_b32_e32 v15, v24
	v_lshrrev_b64 v[30:31], v5, v[10:11]
	v_and_b32_e32 v25, 0, v13
	v_and_b32_e32 v24, v10, v15
	v_add_u32_e32 v13, 19, v5
	v_lshrrev_b32_e32 v10, 23, v30
	v_lshlrev_b64 v[26:27], v13, 1
	v_add3_u32 v10, v5, v3, v10
	v_bfe_u32 v3, v30, 20, 1
	v_add_u32_e32 v3, -1, v3
	v_cmp_eq_u64_e32 vcc, v[24:25], v[26:27]
	v_cndmask_b32_e32 v3, 0, v3, vcc
	v_add_u32_e32 v3, v3, v30
	v_and_b32_e32 v3, 0xfffff, v3
	v_add_co_u32_e32 v24, vcc, v3, v30
	v_add_u32_e32 v5, 6, v10
	v_addc_co_u32_e32 v25, vcc, 0, v31, vcc
	v_cmp_ne_u32_e32 vcc, 0, v5
                                        ; implicit-def: $vgpr3
	s_and_saveexec_b64 s[0:1], vcc
	s_xor_b64 s[0:1], exec, s[0:1]
; %bb.1232:                             ;   in Loop: Header=BB19_1116 Depth=1
	v_add_u32_e32 v3, 7, v10
	v_cmp_lt_u64_e32 vcc, s[8:9], v[24:25]
	v_cndmask_b32_e32 v3, v5, v3, vcc
	v_cndmask_b32_e64 v5, 0, 1, vcc
	v_lshrrev_b64 v[24:25], v5, v[24:25]
; %bb.1233:                             ;   in Loop: Header=BB19_1116 Depth=1
	s_andn2_saveexec_b64 s[0:1], s[0:1]
; %bb.1234:                             ;   in Loop: Header=BB19_1116 Depth=1
	v_bfe_u32 v3, v24, 23, 1
; %bb.1235:                             ;   in Loop: Header=BB19_1116 Depth=1
	s_or_b64 exec, exec, s[0:1]
	v_lshrrev_b64 v[24:25], 20, v[24:25]
	v_cmp_gt_i32_e32 vcc, 16, v3
	v_cndmask_b32_e32 v27, 0, v25, vcc
	v_cndmask_b32_e32 v26, 7, v24, vcc
	v_cmp_ne_u32_e32 vcc, 0, v3
	v_cmp_ne_u64_e64 s[0:1], 0, v[26:27]
	s_or_b64 s[0:1], vcc, s[0:1]
                                        ; implicit-def: $vgpr24_vgpr25
	s_and_saveexec_b64 s[26:27], s[0:1]
	s_xor_b64 s[0:1], exec, s[26:27]
; %bb.1236:                             ;   in Loop: Header=BB19_1116 Depth=1
	v_min_i32_e32 v3, 15, v3
	v_lshl_or_b32 v3, v3, 3, v4
	v_and_or_b32 v24, v26, 7, v3
                                        ; implicit-def: $vgpr4
; %bb.1237:                             ;   in Loop: Header=BB19_1116 Depth=1
	s_andn2_saveexec_b64 s[0:1], s[0:1]
; %bb.1238:                             ;   in Loop: Header=BB19_1116 Depth=1
	v_pk_mov_b32 v[24:25], v[4:5], v[4:5] op_sel:[0,1]
; %bb.1239:                             ;   in Loop: Header=BB19_1116 Depth=1
	s_or_b64 exec, exec, s[0:1]
.LBB19_1240:                            ;   in Loop: Header=BB19_1116 Depth=1
	s_or_b64 exec, exec, s[14:15]
.LBB19_1241:                            ;   in Loop: Header=BB19_1116 Depth=1
	s_andn2_saveexec_b64 s[0:1], s[12:13]
	s_or_b64 exec, exec, s[0:1]
                                        ; implicit-def: $vgpr3
.LBB19_1242:                            ;   in Loop: Header=BB19_1116 Depth=1
	s_andn2_saveexec_b64 s[0:1], s[10:11]
	s_cbranch_execz .LBB19_1115
; %bb.1243:                             ;   in Loop: Header=BB19_1116 Depth=1
	v_or_b32_sdwa v3, v3, s23 dst_sel:DWORD dst_unused:UNUSED_PAD src0_sel:BYTE_3 src1_sel:DWORD
	v_cmp_eq_u64_e32 vcc, 0, v[10:11]
	v_cndmask_b32_e32 v24, v3, v24, vcc
	s_branch .LBB19_1115
.LBB19_1244:
	s_endpgm
	.section	.rodata,"a",@progbits
	.p2align	6, 0x0
	.amdhsa_kernel _ZN4vllm30reshape_and_cache_flash_kernelI14__hip_bfloat16hLNS_18Fp8KVCacheDataTypeE1EEEvPKT_S5_PT0_S7_PKlllllliiiPKfSB_
		.amdhsa_group_segment_fixed_size 0
		.amdhsa_private_segment_fixed_size 0
		.amdhsa_kernarg_size 368
		.amdhsa_user_sgpr_count 6
		.amdhsa_user_sgpr_private_segment_buffer 1
		.amdhsa_user_sgpr_dispatch_ptr 0
		.amdhsa_user_sgpr_queue_ptr 0
		.amdhsa_user_sgpr_kernarg_segment_ptr 1
		.amdhsa_user_sgpr_dispatch_id 0
		.amdhsa_user_sgpr_flat_scratch_init 0
		.amdhsa_user_sgpr_kernarg_preload_length 0
		.amdhsa_user_sgpr_kernarg_preload_offset 0
		.amdhsa_user_sgpr_private_segment_size 0
		.amdhsa_uses_dynamic_stack 0
		.amdhsa_system_sgpr_private_segment_wavefront_offset 0
		.amdhsa_system_sgpr_workgroup_id_x 1
		.amdhsa_system_sgpr_workgroup_id_y 0
		.amdhsa_system_sgpr_workgroup_id_z 0
		.amdhsa_system_sgpr_workgroup_info 0
		.amdhsa_system_vgpr_workitem_id 0
		.amdhsa_next_free_vgpr 100
		.amdhsa_next_free_sgpr 96
		.amdhsa_accum_offset 100
		.amdhsa_reserve_vcc 1
		.amdhsa_reserve_flat_scratch 0
		.amdhsa_float_round_mode_32 0
		.amdhsa_float_round_mode_16_64 0
		.amdhsa_float_denorm_mode_32 3
		.amdhsa_float_denorm_mode_16_64 3
		.amdhsa_dx10_clamp 1
		.amdhsa_ieee_mode 1
		.amdhsa_fp16_overflow 0
		.amdhsa_tg_split 0
		.amdhsa_exception_fp_ieee_invalid_op 0
		.amdhsa_exception_fp_denorm_src 0
		.amdhsa_exception_fp_ieee_div_zero 0
		.amdhsa_exception_fp_ieee_overflow 0
		.amdhsa_exception_fp_ieee_underflow 0
		.amdhsa_exception_fp_ieee_inexact 0
		.amdhsa_exception_int_div_zero 0
	.end_amdhsa_kernel
	.section	.text._ZN4vllm30reshape_and_cache_flash_kernelI14__hip_bfloat16hLNS_18Fp8KVCacheDataTypeE1EEEvPKT_S5_PT0_S7_PKlllllliiiPKfSB_,"axG",@progbits,_ZN4vllm30reshape_and_cache_flash_kernelI14__hip_bfloat16hLNS_18Fp8KVCacheDataTypeE1EEEvPKT_S5_PT0_S7_PKlllllliiiPKfSB_,comdat
.Lfunc_end19:
	.size	_ZN4vllm30reshape_and_cache_flash_kernelI14__hip_bfloat16hLNS_18Fp8KVCacheDataTypeE1EEEvPKT_S5_PT0_S7_PKlllllliiiPKfSB_, .Lfunc_end19-_ZN4vllm30reshape_and_cache_flash_kernelI14__hip_bfloat16hLNS_18Fp8KVCacheDataTypeE1EEEvPKT_S5_PT0_S7_PKlllllliiiPKfSB_
                                        ; -- End function
	.section	.AMDGPU.csdata,"",@progbits
; Kernel info:
; codeLenInByte = 53788
; NumSgprs: 100
; NumVgprs: 100
; NumAgprs: 0
; TotalNumVgprs: 100
; ScratchSize: 0
; MemoryBound: 0
; FloatMode: 240
; IeeeMode: 1
; LDSByteSize: 0 bytes/workgroup (compile time only)
; SGPRBlocks: 12
; VGPRBlocks: 12
; NumSGPRsForWavesPerEU: 100
; NumVGPRsForWavesPerEU: 100
; AccumOffset: 100
; Occupancy: 4
; WaveLimiterHint : 0
; COMPUTE_PGM_RSRC2:SCRATCH_EN: 0
; COMPUTE_PGM_RSRC2:USER_SGPR: 6
; COMPUTE_PGM_RSRC2:TRAP_HANDLER: 0
; COMPUTE_PGM_RSRC2:TGID_X_EN: 1
; COMPUTE_PGM_RSRC2:TGID_Y_EN: 0
; COMPUTE_PGM_RSRC2:TGID_Z_EN: 0
; COMPUTE_PGM_RSRC2:TIDIG_COMP_CNT: 0
; COMPUTE_PGM_RSRC3_GFX90A:ACCUM_OFFSET: 24
; COMPUTE_PGM_RSRC3_GFX90A:TG_SPLIT: 0
	.section	.text._ZN4vllm27concat_and_cache_mla_kernelIffLNS_18Fp8KVCacheDataTypeE0EEEvPKT_S4_PT0_PKliiiiiiiPKf,"axG",@progbits,_ZN4vllm27concat_and_cache_mla_kernelIffLNS_18Fp8KVCacheDataTypeE0EEEvPKT_S4_PT0_PKliiiiiiiPKf,comdat
	.protected	_ZN4vllm27concat_and_cache_mla_kernelIffLNS_18Fp8KVCacheDataTypeE0EEEvPKT_S4_PT0_PKliiiiiiiPKf ; -- Begin function _ZN4vllm27concat_and_cache_mla_kernelIffLNS_18Fp8KVCacheDataTypeE0EEEvPKT_S4_PT0_PKliiiiiiiPKf
	.globl	_ZN4vllm27concat_and_cache_mla_kernelIffLNS_18Fp8KVCacheDataTypeE0EEEvPKT_S4_PT0_PKliiiiiiiPKf
	.p2align	8
	.type	_ZN4vllm27concat_and_cache_mla_kernelIffLNS_18Fp8KVCacheDataTypeE0EEEvPKT_S4_PT0_PKliiiiiiiPKf,@function
_ZN4vllm27concat_and_cache_mla_kernelIffLNS_18Fp8KVCacheDataTypeE0EEEvPKT_S4_PT0_PKliiiiiiiPKf: ; @_ZN4vllm27concat_and_cache_mla_kernelIffLNS_18Fp8KVCacheDataTypeE0EEEvPKT_S4_PT0_PKliiiiiiiPKf
; %bb.0:
	s_load_dwordx2 s[0:1], s[4:5], 0x18
	s_mov_b32 s7, 0
	s_lshl_b64 s[2:3], s[6:7], 3
	s_waitcnt lgkmcnt(0)
	s_add_u32 s0, s0, s2
	s_addc_u32 s1, s1, s3
	s_load_dwordx2 s[2:3], s[0:1], 0x0
	s_waitcnt lgkmcnt(0)
	v_cmp_lt_i64_e64 s[0:1], s[2:3], 0
	s_and_b64 vcc, exec, s[0:1]
	s_cbranch_vccnz .LBB20_10
; %bb.1:
	s_load_dwordx8 s[8:15], s[4:5], 0x20
	s_waitcnt lgkmcnt(0)
	s_ashr_i32 s15, s14, 31
	s_or_b64 s[0:1], s[2:3], s[14:15]
	s_mov_b32 s0, s7
	s_cmp_lg_u64 s[0:1], 0
	s_cbranch_scc0 .LBB20_11
; %bb.2:
	s_add_u32 s0, s14, s15
	s_mov_b32 s16, s15
	s_mov_b32 s17, s15
	s_addc_u32 s1, s15, s15
	s_xor_b64 s[20:21], s[0:1], s[16:17]
	v_cvt_f32_u32_e32 v1, s20
	v_cvt_f32_u32_e32 v2, s21
	s_sub_u32 s0, 0, s20
	s_subb_u32 s1, 0, s21
	v_madmk_f32 v1, v2, 0x4f800000, v1
	v_rcp_f32_e32 v1, v1
	v_mul_f32_e32 v1, 0x5f7ffffc, v1
	v_mul_f32_e32 v2, 0x2f800000, v1
	v_trunc_f32_e32 v2, v2
	v_madmk_f32 v1, v2, 0xcf800000, v1
	v_cvt_u32_f32_e32 v2, v2
	v_cvt_u32_f32_e32 v1, v1
	v_readfirstlane_b32 s7, v2
	v_readfirstlane_b32 s22, v1
	s_mul_i32 s23, s0, s7
	s_mul_hi_u32 s25, s0, s22
	s_mul_i32 s24, s1, s22
	s_add_i32 s23, s25, s23
	s_add_i32 s23, s23, s24
	s_mul_i32 s26, s0, s22
	s_mul_hi_u32 s24, s22, s23
	s_mul_i32 s25, s22, s23
	s_mul_hi_u32 s22, s22, s26
	s_add_u32 s22, s22, s25
	s_addc_u32 s24, 0, s24
	s_mul_hi_u32 s27, s7, s26
	s_mul_i32 s26, s7, s26
	s_add_u32 s22, s22, s26
	s_mul_hi_u32 s25, s7, s23
	s_addc_u32 s22, s24, s27
	s_addc_u32 s24, s25, 0
	s_mul_i32 s23, s7, s23
	s_add_u32 s22, s22, s23
	s_addc_u32 s23, 0, s24
	v_add_co_u32_e32 v1, vcc, s22, v1
	s_cmp_lg_u64 vcc, 0
	s_addc_u32 s7, s7, s23
	v_readfirstlane_b32 s23, v1
	s_mul_i32 s22, s0, s7
	s_mul_hi_u32 s24, s0, s23
	s_add_i32 s22, s24, s22
	s_mul_i32 s1, s1, s23
	s_add_i32 s22, s22, s1
	s_mul_i32 s0, s0, s23
	s_mul_hi_u32 s24, s7, s0
	s_mul_i32 s25, s7, s0
	s_mul_i32 s27, s23, s22
	s_mul_hi_u32 s0, s23, s0
	s_mul_hi_u32 s26, s23, s22
	s_add_u32 s0, s0, s27
	s_addc_u32 s23, 0, s26
	s_add_u32 s0, s0, s25
	s_mul_hi_u32 s1, s7, s22
	s_addc_u32 s0, s23, s24
	s_addc_u32 s1, s1, 0
	s_mul_i32 s22, s7, s22
	s_add_u32 s0, s0, s22
	s_addc_u32 s1, 0, s1
	v_add_co_u32_e32 v1, vcc, s0, v1
	s_cmp_lg_u64 vcc, 0
	s_addc_u32 s7, s7, s1
	s_ashr_i32 s22, s3, 31
	s_add_u32 s0, s2, s22
	s_mov_b32 s23, s22
	s_addc_u32 s1, s3, s22
	s_xor_b64 s[24:25], s[0:1], s[22:23]
	v_readfirstlane_b32 s26, v1
	s_mul_i32 s1, s24, s7
	s_mul_hi_u32 s27, s24, s26
	s_mul_hi_u32 s0, s24, s7
	s_add_u32 s1, s27, s1
	s_addc_u32 s0, 0, s0
	s_mul_hi_u32 s28, s25, s26
	s_mul_i32 s26, s25, s26
	s_add_u32 s1, s1, s26
	s_mul_hi_u32 s27, s25, s7
	s_addc_u32 s0, s0, s28
	s_addc_u32 s1, s27, 0
	s_mul_i32 s7, s25, s7
	s_add_u32 s7, s0, s7
	s_addc_u32 s26, 0, s1
	s_mul_i32 s0, s20, s26
	s_mul_hi_u32 s1, s20, s7
	s_add_i32 s0, s1, s0
	s_mul_i32 s1, s21, s7
	s_add_i32 s27, s0, s1
	s_mul_i32 s1, s20, s7
	v_mov_b32_e32 v1, s1
	s_sub_i32 s0, s25, s27
	v_sub_co_u32_e32 v1, vcc, s24, v1
	s_cmp_lg_u64 vcc, 0
	s_subb_u32 s24, s0, s21
	v_subrev_co_u32_e64 v2, s[0:1], s20, v1
	s_cmp_lg_u64 s[0:1], 0
	s_subb_u32 s0, s24, 0
	s_cmp_ge_u32 s0, s21
	v_readfirstlane_b32 s24, v2
	s_cselect_b32 s1, -1, 0
	s_cmp_ge_u32 s24, s20
	s_cselect_b32 s24, -1, 0
	s_cmp_eq_u32 s0, s21
	s_cselect_b32 s0, s24, s1
	s_add_u32 s1, s7, 1
	s_addc_u32 s24, s26, 0
	s_add_u32 s28, s7, 2
	s_addc_u32 s29, s26, 0
	s_cmp_lg_u32 s0, 0
	s_cselect_b32 s0, s28, s1
	s_cselect_b32 s1, s29, s24
	s_cmp_lg_u64 vcc, 0
	s_subb_u32 s24, s25, s27
	s_cmp_ge_u32 s24, s21
	v_readfirstlane_b32 s27, v1
	s_cselect_b32 s25, -1, 0
	s_cmp_ge_u32 s27, s20
	s_cselect_b32 s20, -1, 0
	s_cmp_eq_u32 s24, s21
	s_cselect_b32 s20, s20, s25
	s_cmp_lg_u32 s20, 0
	s_cselect_b32 s1, s1, s26
	s_cselect_b32 s0, s0, s7
	s_xor_b64 s[16:17], s[22:23], s[16:17]
	s_xor_b64 s[0:1], s[0:1], s[16:17]
	s_sub_u32 s16, s0, s16
	s_subb_u32 s17, s1, s17
	s_load_dwordx2 s[0:1], s[4:5], 0x10
	s_cbranch_execnz .LBB20_4
.LBB20_3:
	v_cvt_f32_u32_e32 v1, s14
	s_sub_i32 s7, 0, s14
	s_mov_b32 s17, 0
	v_rcp_iflag_f32_e32 v1, v1
	v_mul_f32_e32 v1, 0x4f7ffffe, v1
	v_cvt_u32_f32_e32 v1, v1
	v_readfirstlane_b32 s16, v1
	s_mul_i32 s7, s7, s16
	s_mul_hi_u32 s7, s16, s7
	s_add_i32 s16, s16, s7
	s_mul_hi_u32 s7, s2, s16
	s_mul_i32 s18, s7, s14
	s_sub_i32 s18, s2, s18
	s_add_i32 s16, s7, 1
	s_sub_i32 s19, s18, s14
	s_cmp_ge_u32 s18, s14
	s_cselect_b32 s7, s16, s7
	s_cselect_b32 s18, s19, s18
	s_add_i32 s16, s7, 1
	s_cmp_ge_u32 s18, s14
	s_cselect_b32 s16, s16, s7
.LBB20_4:
	s_mul_i32 s7, s16, s15
	s_mul_hi_u32 s15, s16, s14
	s_load_dwordx2 s[18:19], s[4:5], 0x8
	s_add_i32 s7, s15, s7
	s_mul_i32 s15, s17, s14
	s_add_i32 s15, s7, s15
	s_mul_i32 s7, s16, s14
	s_sub_u32 s7, s2, s7
	s_subb_u32 s24, s3, s15
	v_cmp_gt_i32_e32 vcc, s12, v0
	s_mul_hi_u32 s25, s16, s8
	s_mul_i32 s26, s17, s8
	s_mul_i32 s2, s16, s8
	s_mul_hi_u32 s17, s7, s9
	s_mul_i32 s24, s24, s9
	s_mul_i32 s14, s7, s9
	s_and_saveexec_b64 s[20:21], vcc
	s_cbranch_execz .LBB20_7
; %bb.5:
	s_ashr_i32 s3, s10, 31
	s_mul_hi_u32 s15, s10, s6
	s_mul_i32 s3, s3, s6
	s_load_dwordx2 s[28:29], s[4:5], 0x0
	s_load_dword s27, s[4:5], 0x54
	s_add_i32 s23, s15, s3
	s_mul_i32 s22, s10, s6
	s_ashr_i32 s3, s8, 31
	s_ashr_i32 s10, s9, 31
	s_mul_i32 s3, s16, s3
	s_mul_i32 s10, s7, s10
	s_add_i32 s3, s25, s3
	s_add_i32 s10, s17, s10
	;; [unrolled: 1-line block ×4, first 2 shown]
	s_lshl_b64 s[22:23], s[22:23], 2
	s_waitcnt lgkmcnt(0)
	s_add_u32 s10, s28, s22
	s_addc_u32 s28, s29, s23
	s_lshl_b64 s[22:23], s[2:3], 2
	s_add_u32 s3, s0, s22
	s_addc_u32 s29, s1, s23
	s_lshl_b64 s[22:23], s[14:15], 2
	s_add_u32 s3, s3, s22
	s_addc_u32 s29, s29, s23
	s_and_b32 s15, s27, 0xffff
	s_mov_b64 s[22:23], 0
	v_mov_b32_e32 v1, s28
	v_mov_b32_e32 v4, s29
	;; [unrolled: 1-line block ×3, first 2 shown]
.LBB20_6:                               ; =>This Inner Loop Header: Depth=1
	v_ashrrev_i32_e32 v3, 31, v2
	v_lshlrev_b64 v[6:7], 2, v[2:3]
	v_add_co_u32_e32 v8, vcc, s10, v6
	v_addc_co_u32_e32 v9, vcc, v1, v7, vcc
	global_load_dword v3, v[8:9], off
	v_add_co_u32_e32 v6, vcc, s3, v6
	v_addc_co_u32_e32 v7, vcc, v4, v7, vcc
	v_add_u32_e32 v2, s15, v2
	v_cmp_le_i32_e32 vcc, s12, v2
	s_or_b64 s[22:23], vcc, s[22:23]
	s_waitcnt vmcnt(0)
	global_store_dword v[6:7], v3, off
	s_andn2_b64 exec, exec, s[22:23]
	s_cbranch_execnz .LBB20_6
.LBB20_7:
	s_or_b64 exec, exec, s[20:21]
	v_cmp_gt_i32_e32 vcc, s13, v0
	s_and_saveexec_b64 s[20:21], vcc
	s_cbranch_execz .LBB20_10
; %bb.8:
	s_ashr_i32 s3, s11, 31
	s_mul_hi_u32 s10, s11, s6
	s_mul_i32 s3, s3, s6
	s_add_i32 s21, s10, s3
	s_mul_i32 s20, s11, s6
	s_ashr_i32 s3, s8, 31
	s_ashr_i32 s6, s9, 31
	s_mul_i32 s3, s16, s3
	s_mul_i32 s7, s7, s6
	s_add_i32 s3, s25, s3
	s_add_i32 s6, s17, s7
	;; [unrolled: 1-line block ×4, first 2 shown]
	s_ashr_i32 s9, s12, 31
	s_lshl_b64 s[6:7], s[20:21], 2
	s_waitcnt lgkmcnt(0)
	s_add_u32 s6, s18, s6
	s_addc_u32 s7, s19, s7
	s_lshl_b64 s[2:3], s[2:3], 2
	s_add_u32 s2, s0, s2
	s_addc_u32 s3, s1, s3
	s_lshl_b64 s[0:1], s[14:15], 2
	s_load_dword s4, s[4:5], 0x54
	s_mov_b32 s8, s12
	s_add_u32 s2, s2, s0
	s_addc_u32 s3, s3, s1
	s_lshl_b64 s[0:1], s[8:9], 2
	s_add_u32 s2, s2, s0
	s_addc_u32 s5, s3, s1
	s_waitcnt lgkmcnt(0)
	s_and_b32 s3, s4, 0xffff
	s_mov_b64 s[0:1], 0
	v_mov_b32_e32 v2, s7
	v_mov_b32_e32 v3, s5
.LBB20_9:                               ; =>This Inner Loop Header: Depth=1
	v_ashrrev_i32_e32 v1, 31, v0
	v_lshlrev_b64 v[4:5], 2, v[0:1]
	v_add_co_u32_e32 v6, vcc, s6, v4
	v_addc_co_u32_e32 v7, vcc, v2, v5, vcc
	global_load_dword v1, v[6:7], off
	v_add_co_u32_e32 v4, vcc, s2, v4
	v_addc_co_u32_e32 v5, vcc, v3, v5, vcc
	v_add_u32_e32 v0, s3, v0
	v_cmp_le_i32_e32 vcc, s13, v0
	s_or_b64 s[0:1], vcc, s[0:1]
	s_waitcnt vmcnt(0)
	global_store_dword v[4:5], v1, off
	s_andn2_b64 exec, exec, s[0:1]
	s_cbranch_execnz .LBB20_9
.LBB20_10:
	s_endpgm
.LBB20_11:
                                        ; implicit-def: $sgpr16_sgpr17
	s_load_dwordx2 s[0:1], s[4:5], 0x10
	s_branch .LBB20_3
	.section	.rodata,"a",@progbits
	.p2align	6, 0x0
	.amdhsa_kernel _ZN4vllm27concat_and_cache_mla_kernelIffLNS_18Fp8KVCacheDataTypeE0EEEvPKT_S4_PT0_PKliiiiiiiPKf
		.amdhsa_group_segment_fixed_size 0
		.amdhsa_private_segment_fixed_size 0
		.amdhsa_kernarg_size 328
		.amdhsa_user_sgpr_count 6
		.amdhsa_user_sgpr_private_segment_buffer 1
		.amdhsa_user_sgpr_dispatch_ptr 0
		.amdhsa_user_sgpr_queue_ptr 0
		.amdhsa_user_sgpr_kernarg_segment_ptr 1
		.amdhsa_user_sgpr_dispatch_id 0
		.amdhsa_user_sgpr_flat_scratch_init 0
		.amdhsa_user_sgpr_kernarg_preload_length 0
		.amdhsa_user_sgpr_kernarg_preload_offset 0
		.amdhsa_user_sgpr_private_segment_size 0
		.amdhsa_uses_dynamic_stack 0
		.amdhsa_system_sgpr_private_segment_wavefront_offset 0
		.amdhsa_system_sgpr_workgroup_id_x 1
		.amdhsa_system_sgpr_workgroup_id_y 0
		.amdhsa_system_sgpr_workgroup_id_z 0
		.amdhsa_system_sgpr_workgroup_info 0
		.amdhsa_system_vgpr_workitem_id 0
		.amdhsa_next_free_vgpr 10
		.amdhsa_next_free_sgpr 30
		.amdhsa_accum_offset 12
		.amdhsa_reserve_vcc 1
		.amdhsa_reserve_flat_scratch 0
		.amdhsa_float_round_mode_32 0
		.amdhsa_float_round_mode_16_64 0
		.amdhsa_float_denorm_mode_32 3
		.amdhsa_float_denorm_mode_16_64 3
		.amdhsa_dx10_clamp 1
		.amdhsa_ieee_mode 1
		.amdhsa_fp16_overflow 0
		.amdhsa_tg_split 0
		.amdhsa_exception_fp_ieee_invalid_op 0
		.amdhsa_exception_fp_denorm_src 0
		.amdhsa_exception_fp_ieee_div_zero 0
		.amdhsa_exception_fp_ieee_overflow 0
		.amdhsa_exception_fp_ieee_underflow 0
		.amdhsa_exception_fp_ieee_inexact 0
		.amdhsa_exception_int_div_zero 0
	.end_amdhsa_kernel
	.section	.text._ZN4vllm27concat_and_cache_mla_kernelIffLNS_18Fp8KVCacheDataTypeE0EEEvPKT_S4_PT0_PKliiiiiiiPKf,"axG",@progbits,_ZN4vllm27concat_and_cache_mla_kernelIffLNS_18Fp8KVCacheDataTypeE0EEEvPKT_S4_PT0_PKliiiiiiiPKf,comdat
.Lfunc_end20:
	.size	_ZN4vllm27concat_and_cache_mla_kernelIffLNS_18Fp8KVCacheDataTypeE0EEEvPKT_S4_PT0_PKliiiiiiiPKf, .Lfunc_end20-_ZN4vllm27concat_and_cache_mla_kernelIffLNS_18Fp8KVCacheDataTypeE0EEEvPKT_S4_PT0_PKliiiiiiiPKf
                                        ; -- End function
	.section	.AMDGPU.csdata,"",@progbits
; Kernel info:
; codeLenInByte = 1256
; NumSgprs: 34
; NumVgprs: 10
; NumAgprs: 0
; TotalNumVgprs: 10
; ScratchSize: 0
; MemoryBound: 0
; FloatMode: 240
; IeeeMode: 1
; LDSByteSize: 0 bytes/workgroup (compile time only)
; SGPRBlocks: 4
; VGPRBlocks: 1
; NumSGPRsForWavesPerEU: 34
; NumVGPRsForWavesPerEU: 10
; AccumOffset: 12
; Occupancy: 8
; WaveLimiterHint : 0
; COMPUTE_PGM_RSRC2:SCRATCH_EN: 0
; COMPUTE_PGM_RSRC2:USER_SGPR: 6
; COMPUTE_PGM_RSRC2:TRAP_HANDLER: 0
; COMPUTE_PGM_RSRC2:TGID_X_EN: 1
; COMPUTE_PGM_RSRC2:TGID_Y_EN: 0
; COMPUTE_PGM_RSRC2:TGID_Z_EN: 0
; COMPUTE_PGM_RSRC2:TIDIG_COMP_CNT: 0
; COMPUTE_PGM_RSRC3_GFX90A:ACCUM_OFFSET: 2
; COMPUTE_PGM_RSRC3_GFX90A:TG_SPLIT: 0
	.section	.text._ZN4vllm27concat_and_cache_mla_kernelIttLNS_18Fp8KVCacheDataTypeE0EEEvPKT_S4_PT0_PKliiiiiiiPKf,"axG",@progbits,_ZN4vllm27concat_and_cache_mla_kernelIttLNS_18Fp8KVCacheDataTypeE0EEEvPKT_S4_PT0_PKliiiiiiiPKf,comdat
	.protected	_ZN4vllm27concat_and_cache_mla_kernelIttLNS_18Fp8KVCacheDataTypeE0EEEvPKT_S4_PT0_PKliiiiiiiPKf ; -- Begin function _ZN4vllm27concat_and_cache_mla_kernelIttLNS_18Fp8KVCacheDataTypeE0EEEvPKT_S4_PT0_PKliiiiiiiPKf
	.globl	_ZN4vllm27concat_and_cache_mla_kernelIttLNS_18Fp8KVCacheDataTypeE0EEEvPKT_S4_PT0_PKliiiiiiiPKf
	.p2align	8
	.type	_ZN4vllm27concat_and_cache_mla_kernelIttLNS_18Fp8KVCacheDataTypeE0EEEvPKT_S4_PT0_PKliiiiiiiPKf,@function
_ZN4vllm27concat_and_cache_mla_kernelIttLNS_18Fp8KVCacheDataTypeE0EEEvPKT_S4_PT0_PKliiiiiiiPKf: ; @_ZN4vllm27concat_and_cache_mla_kernelIttLNS_18Fp8KVCacheDataTypeE0EEEvPKT_S4_PT0_PKliiiiiiiPKf
; %bb.0:
	s_load_dwordx2 s[0:1], s[4:5], 0x18
	s_mov_b32 s7, 0
	s_lshl_b64 s[2:3], s[6:7], 3
	s_waitcnt lgkmcnt(0)
	s_add_u32 s0, s0, s2
	s_addc_u32 s1, s1, s3
	s_load_dwordx2 s[2:3], s[0:1], 0x0
	s_waitcnt lgkmcnt(0)
	v_cmp_lt_i64_e64 s[0:1], s[2:3], 0
	s_and_b64 vcc, exec, s[0:1]
	s_cbranch_vccnz .LBB21_10
; %bb.1:
	s_load_dwordx8 s[8:15], s[4:5], 0x20
	s_waitcnt lgkmcnt(0)
	s_ashr_i32 s15, s14, 31
	s_or_b64 s[0:1], s[2:3], s[14:15]
	s_mov_b32 s0, s7
	s_cmp_lg_u64 s[0:1], 0
	s_cbranch_scc0 .LBB21_11
; %bb.2:
	s_add_u32 s0, s14, s15
	s_mov_b32 s16, s15
	s_mov_b32 s17, s15
	s_addc_u32 s1, s15, s15
	s_xor_b64 s[20:21], s[0:1], s[16:17]
	v_cvt_f32_u32_e32 v1, s20
	v_cvt_f32_u32_e32 v2, s21
	s_sub_u32 s0, 0, s20
	s_subb_u32 s1, 0, s21
	v_madmk_f32 v1, v2, 0x4f800000, v1
	v_rcp_f32_e32 v1, v1
	v_mul_f32_e32 v1, 0x5f7ffffc, v1
	v_mul_f32_e32 v2, 0x2f800000, v1
	v_trunc_f32_e32 v2, v2
	v_madmk_f32 v1, v2, 0xcf800000, v1
	v_cvt_u32_f32_e32 v2, v2
	v_cvt_u32_f32_e32 v1, v1
	v_readfirstlane_b32 s7, v2
	v_readfirstlane_b32 s22, v1
	s_mul_i32 s23, s0, s7
	s_mul_hi_u32 s25, s0, s22
	s_mul_i32 s24, s1, s22
	s_add_i32 s23, s25, s23
	s_add_i32 s23, s23, s24
	s_mul_i32 s26, s0, s22
	s_mul_hi_u32 s24, s22, s23
	s_mul_i32 s25, s22, s23
	s_mul_hi_u32 s22, s22, s26
	s_add_u32 s22, s22, s25
	s_addc_u32 s24, 0, s24
	s_mul_hi_u32 s27, s7, s26
	s_mul_i32 s26, s7, s26
	s_add_u32 s22, s22, s26
	s_mul_hi_u32 s25, s7, s23
	s_addc_u32 s22, s24, s27
	s_addc_u32 s24, s25, 0
	s_mul_i32 s23, s7, s23
	s_add_u32 s22, s22, s23
	s_addc_u32 s23, 0, s24
	v_add_co_u32_e32 v1, vcc, s22, v1
	s_cmp_lg_u64 vcc, 0
	s_addc_u32 s7, s7, s23
	v_readfirstlane_b32 s23, v1
	s_mul_i32 s22, s0, s7
	s_mul_hi_u32 s24, s0, s23
	s_add_i32 s22, s24, s22
	s_mul_i32 s1, s1, s23
	s_add_i32 s22, s22, s1
	s_mul_i32 s0, s0, s23
	s_mul_hi_u32 s24, s7, s0
	s_mul_i32 s25, s7, s0
	s_mul_i32 s27, s23, s22
	s_mul_hi_u32 s0, s23, s0
	s_mul_hi_u32 s26, s23, s22
	s_add_u32 s0, s0, s27
	s_addc_u32 s23, 0, s26
	s_add_u32 s0, s0, s25
	s_mul_hi_u32 s1, s7, s22
	s_addc_u32 s0, s23, s24
	s_addc_u32 s1, s1, 0
	s_mul_i32 s22, s7, s22
	s_add_u32 s0, s0, s22
	s_addc_u32 s1, 0, s1
	v_add_co_u32_e32 v1, vcc, s0, v1
	s_cmp_lg_u64 vcc, 0
	s_addc_u32 s7, s7, s1
	s_ashr_i32 s22, s3, 31
	s_add_u32 s0, s2, s22
	s_mov_b32 s23, s22
	s_addc_u32 s1, s3, s22
	s_xor_b64 s[24:25], s[0:1], s[22:23]
	v_readfirstlane_b32 s26, v1
	s_mul_i32 s1, s24, s7
	s_mul_hi_u32 s27, s24, s26
	s_mul_hi_u32 s0, s24, s7
	s_add_u32 s1, s27, s1
	s_addc_u32 s0, 0, s0
	s_mul_hi_u32 s28, s25, s26
	s_mul_i32 s26, s25, s26
	s_add_u32 s1, s1, s26
	s_mul_hi_u32 s27, s25, s7
	s_addc_u32 s0, s0, s28
	s_addc_u32 s1, s27, 0
	s_mul_i32 s7, s25, s7
	s_add_u32 s7, s0, s7
	s_addc_u32 s26, 0, s1
	s_mul_i32 s0, s20, s26
	s_mul_hi_u32 s1, s20, s7
	s_add_i32 s0, s1, s0
	s_mul_i32 s1, s21, s7
	s_add_i32 s27, s0, s1
	s_mul_i32 s1, s20, s7
	v_mov_b32_e32 v1, s1
	s_sub_i32 s0, s25, s27
	v_sub_co_u32_e32 v1, vcc, s24, v1
	s_cmp_lg_u64 vcc, 0
	s_subb_u32 s24, s0, s21
	v_subrev_co_u32_e64 v2, s[0:1], s20, v1
	s_cmp_lg_u64 s[0:1], 0
	s_subb_u32 s0, s24, 0
	s_cmp_ge_u32 s0, s21
	v_readfirstlane_b32 s24, v2
	s_cselect_b32 s1, -1, 0
	s_cmp_ge_u32 s24, s20
	s_cselect_b32 s24, -1, 0
	s_cmp_eq_u32 s0, s21
	s_cselect_b32 s0, s24, s1
	s_add_u32 s1, s7, 1
	s_addc_u32 s24, s26, 0
	s_add_u32 s28, s7, 2
	s_addc_u32 s29, s26, 0
	s_cmp_lg_u32 s0, 0
	s_cselect_b32 s0, s28, s1
	s_cselect_b32 s1, s29, s24
	s_cmp_lg_u64 vcc, 0
	s_subb_u32 s24, s25, s27
	s_cmp_ge_u32 s24, s21
	v_readfirstlane_b32 s27, v1
	s_cselect_b32 s25, -1, 0
	s_cmp_ge_u32 s27, s20
	s_cselect_b32 s20, -1, 0
	s_cmp_eq_u32 s24, s21
	s_cselect_b32 s20, s20, s25
	s_cmp_lg_u32 s20, 0
	s_cselect_b32 s1, s1, s26
	s_cselect_b32 s0, s0, s7
	s_xor_b64 s[16:17], s[22:23], s[16:17]
	s_xor_b64 s[0:1], s[0:1], s[16:17]
	s_sub_u32 s16, s0, s16
	s_subb_u32 s17, s1, s17
	s_load_dwordx2 s[0:1], s[4:5], 0x10
	s_cbranch_execnz .LBB21_4
.LBB21_3:
	v_cvt_f32_u32_e32 v1, s14
	s_sub_i32 s7, 0, s14
	s_mov_b32 s17, 0
	v_rcp_iflag_f32_e32 v1, v1
	v_mul_f32_e32 v1, 0x4f7ffffe, v1
	v_cvt_u32_f32_e32 v1, v1
	v_readfirstlane_b32 s16, v1
	s_mul_i32 s7, s7, s16
	s_mul_hi_u32 s7, s16, s7
	s_add_i32 s16, s16, s7
	s_mul_hi_u32 s7, s2, s16
	s_mul_i32 s18, s7, s14
	s_sub_i32 s18, s2, s18
	s_add_i32 s16, s7, 1
	s_sub_i32 s19, s18, s14
	s_cmp_ge_u32 s18, s14
	s_cselect_b32 s7, s16, s7
	s_cselect_b32 s18, s19, s18
	s_add_i32 s16, s7, 1
	s_cmp_ge_u32 s18, s14
	s_cselect_b32 s16, s16, s7
.LBB21_4:
	s_mul_i32 s7, s16, s15
	s_mul_hi_u32 s15, s16, s14
	s_load_dwordx2 s[18:19], s[4:5], 0x8
	s_add_i32 s7, s15, s7
	s_mul_i32 s15, s17, s14
	s_add_i32 s15, s7, s15
	s_mul_i32 s7, s16, s14
	s_sub_u32 s7, s2, s7
	s_subb_u32 s24, s3, s15
	v_cmp_gt_i32_e32 vcc, s12, v0
	s_mul_hi_u32 s25, s16, s8
	s_mul_i32 s26, s17, s8
	s_mul_i32 s2, s16, s8
	s_mul_hi_u32 s17, s7, s9
	s_mul_i32 s24, s24, s9
	s_mul_i32 s14, s7, s9
	s_and_saveexec_b64 s[20:21], vcc
	s_cbranch_execz .LBB21_7
; %bb.5:
	s_ashr_i32 s3, s10, 31
	s_mul_hi_u32 s15, s10, s6
	s_mul_i32 s3, s3, s6
	s_load_dwordx2 s[28:29], s[4:5], 0x0
	s_load_dword s27, s[4:5], 0x54
	s_add_i32 s23, s15, s3
	s_mul_i32 s22, s10, s6
	s_ashr_i32 s3, s8, 31
	s_ashr_i32 s10, s9, 31
	s_mul_i32 s3, s16, s3
	s_mul_i32 s10, s7, s10
	s_add_i32 s3, s25, s3
	s_add_i32 s10, s17, s10
	;; [unrolled: 1-line block ×4, first 2 shown]
	s_lshl_b64 s[22:23], s[22:23], 1
	s_waitcnt lgkmcnt(0)
	s_add_u32 s10, s28, s22
	s_addc_u32 s28, s29, s23
	s_lshl_b64 s[22:23], s[2:3], 1
	s_add_u32 s3, s0, s22
	s_addc_u32 s29, s1, s23
	s_lshl_b64 s[22:23], s[14:15], 1
	s_add_u32 s3, s3, s22
	s_addc_u32 s29, s29, s23
	s_and_b32 s15, s27, 0xffff
	s_mov_b64 s[22:23], 0
	v_mov_b32_e32 v1, s28
	v_mov_b32_e32 v4, s29
	;; [unrolled: 1-line block ×3, first 2 shown]
.LBB21_6:                               ; =>This Inner Loop Header: Depth=1
	v_ashrrev_i32_e32 v3, 31, v2
	v_lshlrev_b64 v[6:7], 1, v[2:3]
	v_add_co_u32_e32 v8, vcc, s10, v6
	v_addc_co_u32_e32 v9, vcc, v1, v7, vcc
	global_load_ushort v3, v[8:9], off
	v_add_co_u32_e32 v6, vcc, s3, v6
	v_addc_co_u32_e32 v7, vcc, v4, v7, vcc
	v_add_u32_e32 v2, s15, v2
	v_cmp_le_i32_e32 vcc, s12, v2
	s_or_b64 s[22:23], vcc, s[22:23]
	s_waitcnt vmcnt(0)
	global_store_short v[6:7], v3, off
	s_andn2_b64 exec, exec, s[22:23]
	s_cbranch_execnz .LBB21_6
.LBB21_7:
	s_or_b64 exec, exec, s[20:21]
	v_cmp_gt_i32_e32 vcc, s13, v0
	s_and_saveexec_b64 s[20:21], vcc
	s_cbranch_execz .LBB21_10
; %bb.8:
	s_ashr_i32 s3, s11, 31
	s_mul_hi_u32 s10, s11, s6
	s_mul_i32 s3, s3, s6
	s_add_i32 s21, s10, s3
	s_mul_i32 s20, s11, s6
	s_ashr_i32 s3, s8, 31
	s_ashr_i32 s6, s9, 31
	s_mul_i32 s3, s16, s3
	s_mul_i32 s7, s7, s6
	s_add_i32 s3, s25, s3
	s_add_i32 s6, s17, s7
	;; [unrolled: 1-line block ×4, first 2 shown]
	s_ashr_i32 s9, s12, 31
	s_lshl_b64 s[6:7], s[20:21], 1
	s_waitcnt lgkmcnt(0)
	s_add_u32 s6, s18, s6
	s_addc_u32 s7, s19, s7
	s_lshl_b64 s[2:3], s[2:3], 1
	s_add_u32 s2, s0, s2
	s_addc_u32 s3, s1, s3
	s_lshl_b64 s[0:1], s[14:15], 1
	s_load_dword s4, s[4:5], 0x54
	s_mov_b32 s8, s12
	s_add_u32 s2, s2, s0
	s_addc_u32 s3, s3, s1
	s_lshl_b64 s[0:1], s[8:9], 1
	s_add_u32 s2, s2, s0
	s_addc_u32 s5, s3, s1
	s_waitcnt lgkmcnt(0)
	s_and_b32 s3, s4, 0xffff
	s_mov_b64 s[0:1], 0
	v_mov_b32_e32 v2, s7
	v_mov_b32_e32 v3, s5
.LBB21_9:                               ; =>This Inner Loop Header: Depth=1
	v_ashrrev_i32_e32 v1, 31, v0
	v_lshlrev_b64 v[4:5], 1, v[0:1]
	v_add_co_u32_e32 v6, vcc, s6, v4
	v_addc_co_u32_e32 v7, vcc, v2, v5, vcc
	global_load_ushort v1, v[6:7], off
	v_add_co_u32_e32 v4, vcc, s2, v4
	v_addc_co_u32_e32 v5, vcc, v3, v5, vcc
	v_add_u32_e32 v0, s3, v0
	v_cmp_le_i32_e32 vcc, s13, v0
	s_or_b64 s[0:1], vcc, s[0:1]
	s_waitcnt vmcnt(0)
	global_store_short v[4:5], v1, off
	s_andn2_b64 exec, exec, s[0:1]
	s_cbranch_execnz .LBB21_9
.LBB21_10:
	s_endpgm
.LBB21_11:
                                        ; implicit-def: $sgpr16_sgpr17
	s_load_dwordx2 s[0:1], s[4:5], 0x10
	s_branch .LBB21_3
	.section	.rodata,"a",@progbits
	.p2align	6, 0x0
	.amdhsa_kernel _ZN4vllm27concat_and_cache_mla_kernelIttLNS_18Fp8KVCacheDataTypeE0EEEvPKT_S4_PT0_PKliiiiiiiPKf
		.amdhsa_group_segment_fixed_size 0
		.amdhsa_private_segment_fixed_size 0
		.amdhsa_kernarg_size 328
		.amdhsa_user_sgpr_count 6
		.amdhsa_user_sgpr_private_segment_buffer 1
		.amdhsa_user_sgpr_dispatch_ptr 0
		.amdhsa_user_sgpr_queue_ptr 0
		.amdhsa_user_sgpr_kernarg_segment_ptr 1
		.amdhsa_user_sgpr_dispatch_id 0
		.amdhsa_user_sgpr_flat_scratch_init 0
		.amdhsa_user_sgpr_kernarg_preload_length 0
		.amdhsa_user_sgpr_kernarg_preload_offset 0
		.amdhsa_user_sgpr_private_segment_size 0
		.amdhsa_uses_dynamic_stack 0
		.amdhsa_system_sgpr_private_segment_wavefront_offset 0
		.amdhsa_system_sgpr_workgroup_id_x 1
		.amdhsa_system_sgpr_workgroup_id_y 0
		.amdhsa_system_sgpr_workgroup_id_z 0
		.amdhsa_system_sgpr_workgroup_info 0
		.amdhsa_system_vgpr_workitem_id 0
		.amdhsa_next_free_vgpr 10
		.amdhsa_next_free_sgpr 30
		.amdhsa_accum_offset 12
		.amdhsa_reserve_vcc 1
		.amdhsa_reserve_flat_scratch 0
		.amdhsa_float_round_mode_32 0
		.amdhsa_float_round_mode_16_64 0
		.amdhsa_float_denorm_mode_32 3
		.amdhsa_float_denorm_mode_16_64 3
		.amdhsa_dx10_clamp 1
		.amdhsa_ieee_mode 1
		.amdhsa_fp16_overflow 0
		.amdhsa_tg_split 0
		.amdhsa_exception_fp_ieee_invalid_op 0
		.amdhsa_exception_fp_denorm_src 0
		.amdhsa_exception_fp_ieee_div_zero 0
		.amdhsa_exception_fp_ieee_overflow 0
		.amdhsa_exception_fp_ieee_underflow 0
		.amdhsa_exception_fp_ieee_inexact 0
		.amdhsa_exception_int_div_zero 0
	.end_amdhsa_kernel
	.section	.text._ZN4vllm27concat_and_cache_mla_kernelIttLNS_18Fp8KVCacheDataTypeE0EEEvPKT_S4_PT0_PKliiiiiiiPKf,"axG",@progbits,_ZN4vllm27concat_and_cache_mla_kernelIttLNS_18Fp8KVCacheDataTypeE0EEEvPKT_S4_PT0_PKliiiiiiiPKf,comdat
.Lfunc_end21:
	.size	_ZN4vllm27concat_and_cache_mla_kernelIttLNS_18Fp8KVCacheDataTypeE0EEEvPKT_S4_PT0_PKliiiiiiiPKf, .Lfunc_end21-_ZN4vllm27concat_and_cache_mla_kernelIttLNS_18Fp8KVCacheDataTypeE0EEEvPKT_S4_PT0_PKliiiiiiiPKf
                                        ; -- End function
	.section	.AMDGPU.csdata,"",@progbits
; Kernel info:
; codeLenInByte = 1256
; NumSgprs: 34
; NumVgprs: 10
; NumAgprs: 0
; TotalNumVgprs: 10
; ScratchSize: 0
; MemoryBound: 0
; FloatMode: 240
; IeeeMode: 1
; LDSByteSize: 0 bytes/workgroup (compile time only)
; SGPRBlocks: 4
; VGPRBlocks: 1
; NumSGPRsForWavesPerEU: 34
; NumVGPRsForWavesPerEU: 10
; AccumOffset: 12
; Occupancy: 8
; WaveLimiterHint : 0
; COMPUTE_PGM_RSRC2:SCRATCH_EN: 0
; COMPUTE_PGM_RSRC2:USER_SGPR: 6
; COMPUTE_PGM_RSRC2:TRAP_HANDLER: 0
; COMPUTE_PGM_RSRC2:TGID_X_EN: 1
; COMPUTE_PGM_RSRC2:TGID_Y_EN: 0
; COMPUTE_PGM_RSRC2:TGID_Z_EN: 0
; COMPUTE_PGM_RSRC2:TIDIG_COMP_CNT: 0
; COMPUTE_PGM_RSRC3_GFX90A:ACCUM_OFFSET: 2
; COMPUTE_PGM_RSRC3_GFX90A:TG_SPLIT: 0
	.section	.text._ZN4vllm27concat_and_cache_mla_kernelI14__hip_bfloat16S1_LNS_18Fp8KVCacheDataTypeE0EEEvPKT_S5_PT0_PKliiiiiiiPKf,"axG",@progbits,_ZN4vllm27concat_and_cache_mla_kernelI14__hip_bfloat16S1_LNS_18Fp8KVCacheDataTypeE0EEEvPKT_S5_PT0_PKliiiiiiiPKf,comdat
	.protected	_ZN4vllm27concat_and_cache_mla_kernelI14__hip_bfloat16S1_LNS_18Fp8KVCacheDataTypeE0EEEvPKT_S5_PT0_PKliiiiiiiPKf ; -- Begin function _ZN4vllm27concat_and_cache_mla_kernelI14__hip_bfloat16S1_LNS_18Fp8KVCacheDataTypeE0EEEvPKT_S5_PT0_PKliiiiiiiPKf
	.globl	_ZN4vllm27concat_and_cache_mla_kernelI14__hip_bfloat16S1_LNS_18Fp8KVCacheDataTypeE0EEEvPKT_S5_PT0_PKliiiiiiiPKf
	.p2align	8
	.type	_ZN4vllm27concat_and_cache_mla_kernelI14__hip_bfloat16S1_LNS_18Fp8KVCacheDataTypeE0EEEvPKT_S5_PT0_PKliiiiiiiPKf,@function
_ZN4vllm27concat_and_cache_mla_kernelI14__hip_bfloat16S1_LNS_18Fp8KVCacheDataTypeE0EEEvPKT_S5_PT0_PKliiiiiiiPKf: ; @_ZN4vllm27concat_and_cache_mla_kernelI14__hip_bfloat16S1_LNS_18Fp8KVCacheDataTypeE0EEEvPKT_S5_PT0_PKliiiiiiiPKf
; %bb.0:
	s_load_dwordx2 s[0:1], s[4:5], 0x18
	s_mov_b32 s7, 0
	s_lshl_b64 s[2:3], s[6:7], 3
	s_waitcnt lgkmcnt(0)
	s_add_u32 s0, s0, s2
	s_addc_u32 s1, s1, s3
	s_load_dwordx2 s[2:3], s[0:1], 0x0
	s_waitcnt lgkmcnt(0)
	v_cmp_lt_i64_e64 s[0:1], s[2:3], 0
	s_and_b64 vcc, exec, s[0:1]
	s_cbranch_vccnz .LBB22_10
; %bb.1:
	s_load_dwordx8 s[8:15], s[4:5], 0x20
	s_waitcnt lgkmcnt(0)
	s_ashr_i32 s15, s14, 31
	s_or_b64 s[0:1], s[2:3], s[14:15]
	s_mov_b32 s0, s7
	s_cmp_lg_u64 s[0:1], 0
	s_cbranch_scc0 .LBB22_11
; %bb.2:
	s_add_u32 s0, s14, s15
	s_mov_b32 s16, s15
	s_mov_b32 s17, s15
	s_addc_u32 s1, s15, s15
	s_xor_b64 s[20:21], s[0:1], s[16:17]
	v_cvt_f32_u32_e32 v1, s20
	v_cvt_f32_u32_e32 v2, s21
	s_sub_u32 s0, 0, s20
	s_subb_u32 s1, 0, s21
	v_madmk_f32 v1, v2, 0x4f800000, v1
	v_rcp_f32_e32 v1, v1
	v_mul_f32_e32 v1, 0x5f7ffffc, v1
	v_mul_f32_e32 v2, 0x2f800000, v1
	v_trunc_f32_e32 v2, v2
	v_madmk_f32 v1, v2, 0xcf800000, v1
	v_cvt_u32_f32_e32 v2, v2
	v_cvt_u32_f32_e32 v1, v1
	v_readfirstlane_b32 s7, v2
	v_readfirstlane_b32 s22, v1
	s_mul_i32 s23, s0, s7
	s_mul_hi_u32 s25, s0, s22
	s_mul_i32 s24, s1, s22
	s_add_i32 s23, s25, s23
	s_add_i32 s23, s23, s24
	s_mul_i32 s26, s0, s22
	s_mul_hi_u32 s24, s22, s23
	s_mul_i32 s25, s22, s23
	s_mul_hi_u32 s22, s22, s26
	s_add_u32 s22, s22, s25
	s_addc_u32 s24, 0, s24
	s_mul_hi_u32 s27, s7, s26
	s_mul_i32 s26, s7, s26
	s_add_u32 s22, s22, s26
	s_mul_hi_u32 s25, s7, s23
	s_addc_u32 s22, s24, s27
	s_addc_u32 s24, s25, 0
	s_mul_i32 s23, s7, s23
	s_add_u32 s22, s22, s23
	s_addc_u32 s23, 0, s24
	v_add_co_u32_e32 v1, vcc, s22, v1
	s_cmp_lg_u64 vcc, 0
	s_addc_u32 s7, s7, s23
	v_readfirstlane_b32 s23, v1
	s_mul_i32 s22, s0, s7
	s_mul_hi_u32 s24, s0, s23
	s_add_i32 s22, s24, s22
	s_mul_i32 s1, s1, s23
	s_add_i32 s22, s22, s1
	s_mul_i32 s0, s0, s23
	s_mul_hi_u32 s24, s7, s0
	s_mul_i32 s25, s7, s0
	s_mul_i32 s27, s23, s22
	s_mul_hi_u32 s0, s23, s0
	s_mul_hi_u32 s26, s23, s22
	s_add_u32 s0, s0, s27
	s_addc_u32 s23, 0, s26
	s_add_u32 s0, s0, s25
	s_mul_hi_u32 s1, s7, s22
	s_addc_u32 s0, s23, s24
	s_addc_u32 s1, s1, 0
	s_mul_i32 s22, s7, s22
	s_add_u32 s0, s0, s22
	s_addc_u32 s1, 0, s1
	v_add_co_u32_e32 v1, vcc, s0, v1
	s_cmp_lg_u64 vcc, 0
	s_addc_u32 s7, s7, s1
	s_ashr_i32 s22, s3, 31
	s_add_u32 s0, s2, s22
	s_mov_b32 s23, s22
	s_addc_u32 s1, s3, s22
	s_xor_b64 s[24:25], s[0:1], s[22:23]
	v_readfirstlane_b32 s26, v1
	s_mul_i32 s1, s24, s7
	s_mul_hi_u32 s27, s24, s26
	s_mul_hi_u32 s0, s24, s7
	s_add_u32 s1, s27, s1
	s_addc_u32 s0, 0, s0
	s_mul_hi_u32 s28, s25, s26
	s_mul_i32 s26, s25, s26
	s_add_u32 s1, s1, s26
	s_mul_hi_u32 s27, s25, s7
	s_addc_u32 s0, s0, s28
	s_addc_u32 s1, s27, 0
	s_mul_i32 s7, s25, s7
	s_add_u32 s7, s0, s7
	s_addc_u32 s26, 0, s1
	s_mul_i32 s0, s20, s26
	s_mul_hi_u32 s1, s20, s7
	s_add_i32 s0, s1, s0
	s_mul_i32 s1, s21, s7
	s_add_i32 s27, s0, s1
	s_mul_i32 s1, s20, s7
	v_mov_b32_e32 v1, s1
	s_sub_i32 s0, s25, s27
	v_sub_co_u32_e32 v1, vcc, s24, v1
	s_cmp_lg_u64 vcc, 0
	s_subb_u32 s24, s0, s21
	v_subrev_co_u32_e64 v2, s[0:1], s20, v1
	s_cmp_lg_u64 s[0:1], 0
	s_subb_u32 s0, s24, 0
	s_cmp_ge_u32 s0, s21
	v_readfirstlane_b32 s24, v2
	s_cselect_b32 s1, -1, 0
	s_cmp_ge_u32 s24, s20
	s_cselect_b32 s24, -1, 0
	s_cmp_eq_u32 s0, s21
	s_cselect_b32 s0, s24, s1
	s_add_u32 s1, s7, 1
	s_addc_u32 s24, s26, 0
	s_add_u32 s28, s7, 2
	s_addc_u32 s29, s26, 0
	s_cmp_lg_u32 s0, 0
	s_cselect_b32 s0, s28, s1
	s_cselect_b32 s1, s29, s24
	s_cmp_lg_u64 vcc, 0
	s_subb_u32 s24, s25, s27
	s_cmp_ge_u32 s24, s21
	v_readfirstlane_b32 s27, v1
	s_cselect_b32 s25, -1, 0
	s_cmp_ge_u32 s27, s20
	s_cselect_b32 s20, -1, 0
	s_cmp_eq_u32 s24, s21
	s_cselect_b32 s20, s20, s25
	s_cmp_lg_u32 s20, 0
	s_cselect_b32 s1, s1, s26
	s_cselect_b32 s0, s0, s7
	s_xor_b64 s[16:17], s[22:23], s[16:17]
	s_xor_b64 s[0:1], s[0:1], s[16:17]
	s_sub_u32 s16, s0, s16
	s_subb_u32 s17, s1, s17
	s_load_dwordx2 s[0:1], s[4:5], 0x10
	s_cbranch_execnz .LBB22_4
.LBB22_3:
	v_cvt_f32_u32_e32 v1, s14
	s_sub_i32 s7, 0, s14
	s_mov_b32 s17, 0
	v_rcp_iflag_f32_e32 v1, v1
	v_mul_f32_e32 v1, 0x4f7ffffe, v1
	v_cvt_u32_f32_e32 v1, v1
	v_readfirstlane_b32 s16, v1
	s_mul_i32 s7, s7, s16
	s_mul_hi_u32 s7, s16, s7
	s_add_i32 s16, s16, s7
	s_mul_hi_u32 s7, s2, s16
	s_mul_i32 s18, s7, s14
	s_sub_i32 s18, s2, s18
	s_add_i32 s16, s7, 1
	s_sub_i32 s19, s18, s14
	s_cmp_ge_u32 s18, s14
	s_cselect_b32 s7, s16, s7
	s_cselect_b32 s18, s19, s18
	s_add_i32 s16, s7, 1
	s_cmp_ge_u32 s18, s14
	s_cselect_b32 s16, s16, s7
.LBB22_4:
	s_mul_i32 s7, s16, s15
	s_mul_hi_u32 s15, s16, s14
	s_load_dwordx2 s[18:19], s[4:5], 0x8
	s_add_i32 s7, s15, s7
	s_mul_i32 s15, s17, s14
	s_add_i32 s15, s7, s15
	s_mul_i32 s7, s16, s14
	s_sub_u32 s7, s2, s7
	s_subb_u32 s24, s3, s15
	v_cmp_gt_i32_e32 vcc, s12, v0
	s_mul_hi_u32 s25, s16, s8
	s_mul_i32 s26, s17, s8
	s_mul_i32 s2, s16, s8
	s_mul_hi_u32 s17, s7, s9
	s_mul_i32 s24, s24, s9
	s_mul_i32 s14, s7, s9
	s_and_saveexec_b64 s[20:21], vcc
	s_cbranch_execz .LBB22_7
; %bb.5:
	s_ashr_i32 s3, s10, 31
	s_mul_hi_u32 s15, s10, s6
	s_mul_i32 s3, s3, s6
	s_load_dwordx2 s[28:29], s[4:5], 0x0
	s_load_dword s27, s[4:5], 0x54
	s_add_i32 s23, s15, s3
	s_mul_i32 s22, s10, s6
	s_ashr_i32 s3, s8, 31
	s_ashr_i32 s10, s9, 31
	s_mul_i32 s3, s16, s3
	s_mul_i32 s10, s7, s10
	s_add_i32 s3, s25, s3
	s_add_i32 s10, s17, s10
	;; [unrolled: 1-line block ×4, first 2 shown]
	s_lshl_b64 s[22:23], s[22:23], 1
	s_waitcnt lgkmcnt(0)
	s_add_u32 s10, s28, s22
	s_addc_u32 s28, s29, s23
	s_lshl_b64 s[22:23], s[2:3], 1
	s_add_u32 s3, s0, s22
	s_addc_u32 s29, s1, s23
	s_lshl_b64 s[22:23], s[14:15], 1
	s_add_u32 s3, s3, s22
	s_addc_u32 s29, s29, s23
	s_and_b32 s15, s27, 0xffff
	s_mov_b64 s[22:23], 0
	v_mov_b32_e32 v1, s28
	v_mov_b32_e32 v4, s29
	;; [unrolled: 1-line block ×3, first 2 shown]
.LBB22_6:                               ; =>This Inner Loop Header: Depth=1
	v_ashrrev_i32_e32 v3, 31, v2
	v_lshlrev_b64 v[6:7], 1, v[2:3]
	v_add_co_u32_e32 v8, vcc, s10, v6
	v_addc_co_u32_e32 v9, vcc, v1, v7, vcc
	global_load_ushort v3, v[8:9], off
	v_add_co_u32_e32 v6, vcc, s3, v6
	v_addc_co_u32_e32 v7, vcc, v4, v7, vcc
	v_add_u32_e32 v2, s15, v2
	v_cmp_le_i32_e32 vcc, s12, v2
	s_or_b64 s[22:23], vcc, s[22:23]
	s_waitcnt vmcnt(0)
	global_store_short v[6:7], v3, off
	s_andn2_b64 exec, exec, s[22:23]
	s_cbranch_execnz .LBB22_6
.LBB22_7:
	s_or_b64 exec, exec, s[20:21]
	v_cmp_gt_i32_e32 vcc, s13, v0
	s_and_saveexec_b64 s[20:21], vcc
	s_cbranch_execz .LBB22_10
; %bb.8:
	s_ashr_i32 s3, s11, 31
	s_mul_hi_u32 s10, s11, s6
	s_mul_i32 s3, s3, s6
	s_add_i32 s21, s10, s3
	s_mul_i32 s20, s11, s6
	s_ashr_i32 s3, s8, 31
	s_ashr_i32 s6, s9, 31
	s_mul_i32 s3, s16, s3
	s_mul_i32 s7, s7, s6
	s_add_i32 s3, s25, s3
	s_add_i32 s6, s17, s7
	;; [unrolled: 1-line block ×4, first 2 shown]
	s_ashr_i32 s9, s12, 31
	s_lshl_b64 s[6:7], s[20:21], 1
	s_waitcnt lgkmcnt(0)
	s_add_u32 s6, s18, s6
	s_addc_u32 s7, s19, s7
	s_lshl_b64 s[2:3], s[2:3], 1
	s_add_u32 s2, s0, s2
	s_addc_u32 s3, s1, s3
	s_lshl_b64 s[0:1], s[14:15], 1
	s_load_dword s4, s[4:5], 0x54
	s_mov_b32 s8, s12
	s_add_u32 s2, s2, s0
	s_addc_u32 s3, s3, s1
	s_lshl_b64 s[0:1], s[8:9], 1
	s_add_u32 s2, s2, s0
	s_addc_u32 s5, s3, s1
	s_waitcnt lgkmcnt(0)
	s_and_b32 s3, s4, 0xffff
	s_mov_b64 s[0:1], 0
	v_mov_b32_e32 v2, s7
	v_mov_b32_e32 v3, s5
.LBB22_9:                               ; =>This Inner Loop Header: Depth=1
	v_ashrrev_i32_e32 v1, 31, v0
	v_lshlrev_b64 v[4:5], 1, v[0:1]
	v_add_co_u32_e32 v6, vcc, s6, v4
	v_addc_co_u32_e32 v7, vcc, v2, v5, vcc
	global_load_ushort v1, v[6:7], off
	v_add_co_u32_e32 v4, vcc, s2, v4
	v_addc_co_u32_e32 v5, vcc, v3, v5, vcc
	v_add_u32_e32 v0, s3, v0
	v_cmp_le_i32_e32 vcc, s13, v0
	s_or_b64 s[0:1], vcc, s[0:1]
	s_waitcnt vmcnt(0)
	global_store_short v[4:5], v1, off
	s_andn2_b64 exec, exec, s[0:1]
	s_cbranch_execnz .LBB22_9
.LBB22_10:
	s_endpgm
.LBB22_11:
                                        ; implicit-def: $sgpr16_sgpr17
	s_load_dwordx2 s[0:1], s[4:5], 0x10
	s_branch .LBB22_3
	.section	.rodata,"a",@progbits
	.p2align	6, 0x0
	.amdhsa_kernel _ZN4vllm27concat_and_cache_mla_kernelI14__hip_bfloat16S1_LNS_18Fp8KVCacheDataTypeE0EEEvPKT_S5_PT0_PKliiiiiiiPKf
		.amdhsa_group_segment_fixed_size 0
		.amdhsa_private_segment_fixed_size 0
		.amdhsa_kernarg_size 328
		.amdhsa_user_sgpr_count 6
		.amdhsa_user_sgpr_private_segment_buffer 1
		.amdhsa_user_sgpr_dispatch_ptr 0
		.amdhsa_user_sgpr_queue_ptr 0
		.amdhsa_user_sgpr_kernarg_segment_ptr 1
		.amdhsa_user_sgpr_dispatch_id 0
		.amdhsa_user_sgpr_flat_scratch_init 0
		.amdhsa_user_sgpr_kernarg_preload_length 0
		.amdhsa_user_sgpr_kernarg_preload_offset 0
		.amdhsa_user_sgpr_private_segment_size 0
		.amdhsa_uses_dynamic_stack 0
		.amdhsa_system_sgpr_private_segment_wavefront_offset 0
		.amdhsa_system_sgpr_workgroup_id_x 1
		.amdhsa_system_sgpr_workgroup_id_y 0
		.amdhsa_system_sgpr_workgroup_id_z 0
		.amdhsa_system_sgpr_workgroup_info 0
		.amdhsa_system_vgpr_workitem_id 0
		.amdhsa_next_free_vgpr 10
		.amdhsa_next_free_sgpr 30
		.amdhsa_accum_offset 12
		.amdhsa_reserve_vcc 1
		.amdhsa_reserve_flat_scratch 0
		.amdhsa_float_round_mode_32 0
		.amdhsa_float_round_mode_16_64 0
		.amdhsa_float_denorm_mode_32 3
		.amdhsa_float_denorm_mode_16_64 3
		.amdhsa_dx10_clamp 1
		.amdhsa_ieee_mode 1
		.amdhsa_fp16_overflow 0
		.amdhsa_tg_split 0
		.amdhsa_exception_fp_ieee_invalid_op 0
		.amdhsa_exception_fp_denorm_src 0
		.amdhsa_exception_fp_ieee_div_zero 0
		.amdhsa_exception_fp_ieee_overflow 0
		.amdhsa_exception_fp_ieee_underflow 0
		.amdhsa_exception_fp_ieee_inexact 0
		.amdhsa_exception_int_div_zero 0
	.end_amdhsa_kernel
	.section	.text._ZN4vllm27concat_and_cache_mla_kernelI14__hip_bfloat16S1_LNS_18Fp8KVCacheDataTypeE0EEEvPKT_S5_PT0_PKliiiiiiiPKf,"axG",@progbits,_ZN4vllm27concat_and_cache_mla_kernelI14__hip_bfloat16S1_LNS_18Fp8KVCacheDataTypeE0EEEvPKT_S5_PT0_PKliiiiiiiPKf,comdat
.Lfunc_end22:
	.size	_ZN4vllm27concat_and_cache_mla_kernelI14__hip_bfloat16S1_LNS_18Fp8KVCacheDataTypeE0EEEvPKT_S5_PT0_PKliiiiiiiPKf, .Lfunc_end22-_ZN4vllm27concat_and_cache_mla_kernelI14__hip_bfloat16S1_LNS_18Fp8KVCacheDataTypeE0EEEvPKT_S5_PT0_PKliiiiiiiPKf
                                        ; -- End function
	.section	.AMDGPU.csdata,"",@progbits
; Kernel info:
; codeLenInByte = 1256
; NumSgprs: 34
; NumVgprs: 10
; NumAgprs: 0
; TotalNumVgprs: 10
; ScratchSize: 0
; MemoryBound: 0
; FloatMode: 240
; IeeeMode: 1
; LDSByteSize: 0 bytes/workgroup (compile time only)
; SGPRBlocks: 4
; VGPRBlocks: 1
; NumSGPRsForWavesPerEU: 34
; NumVGPRsForWavesPerEU: 10
; AccumOffset: 12
; Occupancy: 8
; WaveLimiterHint : 0
; COMPUTE_PGM_RSRC2:SCRATCH_EN: 0
; COMPUTE_PGM_RSRC2:USER_SGPR: 6
; COMPUTE_PGM_RSRC2:TRAP_HANDLER: 0
; COMPUTE_PGM_RSRC2:TGID_X_EN: 1
; COMPUTE_PGM_RSRC2:TGID_Y_EN: 0
; COMPUTE_PGM_RSRC2:TGID_Z_EN: 0
; COMPUTE_PGM_RSRC2:TIDIG_COMP_CNT: 0
; COMPUTE_PGM_RSRC3_GFX90A:ACCUM_OFFSET: 2
; COMPUTE_PGM_RSRC3_GFX90A:TG_SPLIT: 0
	.section	.text._ZN4vllm27concat_and_cache_mla_kernelIfhLNS_18Fp8KVCacheDataTypeE1EEEvPKT_S4_PT0_PKliiiiiiiPKf,"axG",@progbits,_ZN4vllm27concat_and_cache_mla_kernelIfhLNS_18Fp8KVCacheDataTypeE1EEEvPKT_S4_PT0_PKliiiiiiiPKf,comdat
	.protected	_ZN4vllm27concat_and_cache_mla_kernelIfhLNS_18Fp8KVCacheDataTypeE1EEEvPKT_S4_PT0_PKliiiiiiiPKf ; -- Begin function _ZN4vllm27concat_and_cache_mla_kernelIfhLNS_18Fp8KVCacheDataTypeE1EEEvPKT_S4_PT0_PKliiiiiiiPKf
	.globl	_ZN4vllm27concat_and_cache_mla_kernelIfhLNS_18Fp8KVCacheDataTypeE1EEEvPKT_S4_PT0_PKliiiiiiiPKf
	.p2align	8
	.type	_ZN4vllm27concat_and_cache_mla_kernelIfhLNS_18Fp8KVCacheDataTypeE1EEEvPKT_S4_PT0_PKliiiiiiiPKf,@function
_ZN4vllm27concat_and_cache_mla_kernelIfhLNS_18Fp8KVCacheDataTypeE1EEEvPKT_S4_PT0_PKliiiiiiiPKf: ; @_ZN4vllm27concat_and_cache_mla_kernelIfhLNS_18Fp8KVCacheDataTypeE1EEEvPKT_S4_PT0_PKliiiiiiiPKf
; %bb.0:
	s_load_dwordx2 s[0:1], s[4:5], 0x18
	s_mov_b32 s7, 0
	s_lshl_b64 s[2:3], s[6:7], 3
	s_waitcnt lgkmcnt(0)
	s_add_u32 s0, s0, s2
	s_addc_u32 s1, s1, s3
	s_load_dwordx2 s[22:23], s[0:1], 0x0
	s_waitcnt lgkmcnt(0)
	v_cmp_lt_i64_e64 s[0:1], s[22:23], 0
	s_and_b64 vcc, exec, s[0:1]
	s_cbranch_vccnz .LBB23_42
; %bb.1:
	s_load_dwordx8 s[8:15], s[4:5], 0x20
	s_waitcnt lgkmcnt(0)
	s_ashr_i32 s15, s14, 31
	s_or_b64 s[0:1], s[22:23], s[14:15]
	s_mov_b32 s0, s7
	s_cmp_lg_u64 s[0:1], 0
	s_cbranch_scc0 .LBB23_43
; %bb.2:
	s_add_u32 s0, s14, s15
	s_mov_b32 s2, s15
	s_mov_b32 s3, s15
	s_addc_u32 s1, s15, s15
	s_xor_b64 s[16:17], s[0:1], s[2:3]
	v_cvt_f32_u32_e32 v1, s16
	v_cvt_f32_u32_e32 v2, s17
	s_sub_u32 s0, 0, s16
	s_subb_u32 s1, 0, s17
	v_madmk_f32 v1, v2, 0x4f800000, v1
	v_rcp_f32_e32 v1, v1
	v_mul_f32_e32 v1, 0x5f7ffffc, v1
	v_mul_f32_e32 v2, 0x2f800000, v1
	v_trunc_f32_e32 v2, v2
	v_madmk_f32 v1, v2, 0xcf800000, v1
	v_cvt_u32_f32_e32 v2, v2
	v_cvt_u32_f32_e32 v1, v1
	v_readfirstlane_b32 s7, v2
	v_readfirstlane_b32 s20, v1
	s_mul_i32 s21, s0, s7
	s_mul_hi_u32 s25, s0, s20
	s_mul_i32 s24, s1, s20
	s_add_i32 s21, s25, s21
	s_add_i32 s21, s21, s24
	s_mul_i32 s26, s0, s20
	s_mul_hi_u32 s24, s20, s21
	s_mul_i32 s25, s20, s21
	s_mul_hi_u32 s20, s20, s26
	s_add_u32 s20, s20, s25
	s_addc_u32 s24, 0, s24
	s_mul_hi_u32 s27, s7, s26
	s_mul_i32 s26, s7, s26
	s_add_u32 s20, s20, s26
	s_mul_hi_u32 s25, s7, s21
	s_addc_u32 s20, s24, s27
	s_addc_u32 s24, s25, 0
	s_mul_i32 s21, s7, s21
	s_add_u32 s20, s20, s21
	s_addc_u32 s21, 0, s24
	v_add_co_u32_e32 v1, vcc, s20, v1
	s_cmp_lg_u64 vcc, 0
	s_addc_u32 s7, s7, s21
	v_readfirstlane_b32 s21, v1
	s_mul_i32 s20, s0, s7
	s_mul_hi_u32 s24, s0, s21
	s_add_i32 s20, s24, s20
	s_mul_i32 s1, s1, s21
	s_add_i32 s20, s20, s1
	s_mul_i32 s0, s0, s21
	s_mul_hi_u32 s24, s7, s0
	s_mul_i32 s25, s7, s0
	s_mul_i32 s27, s21, s20
	s_mul_hi_u32 s0, s21, s0
	s_mul_hi_u32 s26, s21, s20
	s_add_u32 s0, s0, s27
	s_addc_u32 s21, 0, s26
	s_add_u32 s0, s0, s25
	s_mul_hi_u32 s1, s7, s20
	s_addc_u32 s0, s21, s24
	s_addc_u32 s1, s1, 0
	s_mul_i32 s20, s7, s20
	s_add_u32 s0, s0, s20
	s_addc_u32 s1, 0, s1
	v_add_co_u32_e32 v1, vcc, s0, v1
	s_cmp_lg_u64 vcc, 0
	s_addc_u32 s7, s7, s1
	s_ashr_i32 s20, s23, 31
	s_add_u32 s0, s22, s20
	s_mov_b32 s21, s20
	s_addc_u32 s1, s23, s20
	s_xor_b64 s[24:25], s[0:1], s[20:21]
	v_readfirstlane_b32 s26, v1
	s_mul_i32 s1, s24, s7
	s_mul_hi_u32 s27, s24, s26
	s_mul_hi_u32 s0, s24, s7
	s_add_u32 s1, s27, s1
	s_addc_u32 s0, 0, s0
	s_mul_hi_u32 s28, s25, s26
	s_mul_i32 s26, s25, s26
	s_add_u32 s1, s1, s26
	s_mul_hi_u32 s27, s25, s7
	s_addc_u32 s0, s0, s28
	s_addc_u32 s1, s27, 0
	s_mul_i32 s7, s25, s7
	s_add_u32 s7, s0, s7
	s_addc_u32 s26, 0, s1
	s_mul_i32 s0, s16, s26
	s_mul_hi_u32 s1, s16, s7
	s_add_i32 s0, s1, s0
	s_mul_i32 s1, s17, s7
	s_add_i32 s27, s0, s1
	s_mul_i32 s1, s16, s7
	v_mov_b32_e32 v1, s1
	s_sub_i32 s0, s25, s27
	v_sub_co_u32_e32 v1, vcc, s24, v1
	s_cmp_lg_u64 vcc, 0
	s_subb_u32 s24, s0, s17
	v_subrev_co_u32_e64 v2, s[0:1], s16, v1
	s_cmp_lg_u64 s[0:1], 0
	s_subb_u32 s0, s24, 0
	s_cmp_ge_u32 s0, s17
	v_readfirstlane_b32 s24, v2
	s_cselect_b32 s1, -1, 0
	s_cmp_ge_u32 s24, s16
	s_cselect_b32 s24, -1, 0
	s_cmp_eq_u32 s0, s17
	s_cselect_b32 s0, s24, s1
	s_add_u32 s1, s7, 1
	s_addc_u32 s24, s26, 0
	s_add_u32 s28, s7, 2
	s_addc_u32 s29, s26, 0
	s_cmp_lg_u32 s0, 0
	s_cselect_b32 s0, s28, s1
	s_cselect_b32 s1, s29, s24
	s_cmp_lg_u64 vcc, 0
	s_subb_u32 s24, s25, s27
	s_cmp_ge_u32 s24, s17
	v_readfirstlane_b32 s27, v1
	s_cselect_b32 s25, -1, 0
	s_cmp_ge_u32 s27, s16
	s_cselect_b32 s16, -1, 0
	s_cmp_eq_u32 s24, s17
	s_cselect_b32 s16, s16, s25
	s_cmp_lg_u32 s16, 0
	s_cselect_b32 s1, s1, s26
	s_cselect_b32 s0, s0, s7
	s_xor_b64 s[2:3], s[20:21], s[2:3]
	s_xor_b64 s[0:1], s[0:1], s[2:3]
	s_sub_u32 s16, s0, s2
	s_subb_u32 s17, s1, s3
	s_load_dwordx2 s[2:3], s[4:5], 0x10
	s_cbranch_execnz .LBB23_4
.LBB23_3:
	v_cvt_f32_u32_e32 v1, s14
	s_sub_i32 s0, 0, s14
	s_mov_b32 s17, 0
	v_rcp_iflag_f32_e32 v1, v1
	v_mul_f32_e32 v1, 0x4f7ffffe, v1
	v_cvt_u32_f32_e32 v1, v1
	v_readfirstlane_b32 s1, v1
	s_mul_i32 s0, s0, s1
	s_mul_hi_u32 s0, s1, s0
	s_add_i32 s1, s1, s0
	s_mul_hi_u32 s0, s22, s1
	s_mul_i32 s7, s0, s14
	s_sub_i32 s7, s22, s7
	s_add_i32 s1, s0, 1
	s_sub_i32 s16, s7, s14
	s_cmp_ge_u32 s7, s14
	s_cselect_b32 s0, s1, s0
	s_cselect_b32 s7, s16, s7
	s_add_i32 s1, s0, 1
	s_cmp_ge_u32 s7, s14
	s_cselect_b32 s16, s1, s0
.LBB23_4:
	s_mul_i32 s0, s16, s15
	s_mul_hi_u32 s1, s16, s14
	s_load_dwordx2 s[18:19], s[4:5], 0x8
	s_load_dwordx2 s[20:21], s[4:5], 0x40
	s_add_i32 s0, s1, s0
	s_mul_i32 s1, s17, s14
	s_add_i32 s0, s0, s1
	s_mul_i32 s1, s16, s14
	s_sub_u32 s33, s22, s1
	s_subb_u32 s39, s23, s0
	v_cmp_gt_i32_e32 vcc, s12, v0
	s_mul_hi_u32 s40, s16, s8
	s_mul_i32 s41, s17, s8
	s_mul_i32 s17, s16, s8
	s_mul_hi_u32 s38, s33, s9
	s_mul_i32 s39, s39, s9
	s_mul_i32 s7, s33, s9
	s_and_saveexec_b64 s[14:15], vcc
	s_cbranch_execz .LBB23_23
; %bb.5:
	s_ashr_i32 s0, s10, 31
	s_mul_hi_u32 s1, s10, s6
	s_mul_i32 s0, s0, s6
	s_add_i32 s1, s1, s0
	s_mul_i32 s0, s10, s6
	s_ashr_i32 s10, s8, 31
	s_mul_i32 s10, s16, s10
	s_add_i32 s10, s40, s10
	s_load_dwordx2 s[22:23], s[4:5], 0x0
	s_load_dword s26, s[4:5], 0x54
	s_add_i32 s24, s10, s41
	s_ashr_i32 s10, s9, 31
	s_mul_i32 s10, s33, s10
	s_add_i32 s10, s38, s10
	s_add_i32 s25, s10, s39
	s_lshl_b64 s[0:1], s[0:1], 2
	s_waitcnt lgkmcnt(0)
	s_add_u32 s10, s22, s0
	s_addc_u32 s0, s23, s1
	s_load_dword s42, s[20:21], 0x0
	s_add_u32 s1, s2, s17
	s_addc_u32 s22, s3, s24
	s_add_u32 s43, s1, s7
	s_addc_u32 s44, s22, s25
	s_and_b32 s45, s26, 0xffff
	s_mov_b64 s[22:23], 0
	v_mov_b32_e32 v1, s0
	v_mov_b32_e32 v3, 0
	s_movk_i32 s46, 0x80
	s_mov_b64 s[24:25], 0x7f800000
	s_mov_b64 s[26:27], 0x43e00001
	s_movk_i32 s47, 0x7a
	s_mov_b64 s[28:29], 0xffffff
	s_movk_i32 s48, 0x7f
	v_mov_b32_e32 v8, 0xffffff82
	v_mov_b32_e32 v9, 0x78
	;; [unrolled: 1-line block ×3, first 2 shown]
	s_branch .LBB23_7
.LBB23_6:                               ;   in Loop: Header=BB23_7 Depth=1
	s_or_b64 exec, exec, s[0:1]
	v_mov_b32_e32 v2, s44
	v_add_co_u32_e32 v10, vcc, s43, v4
	v_addc_co_u32_e32 v11, vcc, v2, v5, vcc
	v_add_u32_e32 v4, s45, v4
	v_cmp_le_i32_e32 vcc, s12, v4
	s_or_b64 s[22:23], vcc, s[22:23]
	global_store_byte v[10:11], v7, off
	s_andn2_b64 exec, exec, s[22:23]
	s_cbranch_execz .LBB23_23
.LBB23_7:                               ; =>This Inner Loop Header: Depth=1
	v_ashrrev_i32_e32 v5, 31, v4
	v_lshlrev_b64 v[6:7], 2, v[4:5]
	v_add_co_u32_e32 v6, vcc, s10, v6
	v_addc_co_u32_e32 v7, vcc, v1, v7, vcc
	global_load_dword v2, v[6:7], off
	v_mov_b32_e32 v13, v3
	s_waitcnt vmcnt(0) lgkmcnt(0)
	v_div_scale_f32 v6, s[0:1], s42, s42, v2
	v_rcp_f32_e32 v7, v6
	v_div_scale_f32 v10, vcc, v2, s42, v2
	v_fma_f32 v11, -v6, v7, 1.0
	v_fmac_f32_e32 v7, v11, v7
	v_mul_f32_e32 v11, v10, v7
	v_fma_f32 v12, -v6, v11, v10
	v_fmac_f32_e32 v11, v12, v7
	v_fma_f32 v6, -v6, v11, v10
	v_div_fmas_f32 v6, v6, v7, v11
	v_div_fixup_f32 v6, v6, s42, v2
	v_and_b32_sdwa v10, v6, s46 dst_sel:DWORD dst_unused:UNUSED_PAD src0_sel:BYTE_3 src1_sel:DWORD
	v_and_b32_e32 v12, 0x7f800000, v6
	v_and_b32_e32 v2, 0x7fffff, v6
	v_or_b32_e32 v7, 0x7e, v10
	v_cmp_ne_u64_e32 vcc, s[24:25], v[12:13]
	s_and_saveexec_b64 s[0:1], vcc
	s_xor_b64 s[30:31], exec, s[0:1]
	s_cbranch_execz .LBB23_21
; %bb.8:                                ;   in Loop: Header=BB23_7 Depth=1
	v_and_b32_e32 v12, 0x7fffffff, v6
	v_mov_b32_e32 v13, v3
	v_cmp_gt_u64_e32 vcc, s[26:27], v[12:13]
	s_and_saveexec_b64 s[0:1], vcc
	s_xor_b64 s[34:35], exec, s[0:1]
	s_cbranch_execz .LBB23_20
; %bb.9:                                ;   in Loop: Header=BB23_7 Depth=1
	v_cmp_ne_u32_e32 vcc, 0, v6
	v_mov_b32_e32 v7, 0
	s_and_saveexec_b64 s[36:37], vcc
	s_cbranch_execz .LBB23_19
; %bb.10:                               ;   in Loop: Header=BB23_7 Depth=1
	v_bfe_u32 v6, v6, 23, 8
	v_sub_u32_e32 v11, 0x79, v6
	v_cmp_gt_u32_e32 vcc, s47, v6
	v_cndmask_b32_e32 v11, 0, v11, vcc
	v_cmp_eq_u32_e32 vcc, 0, v6
	v_cndmask_b32_e32 v11, v11, v9, vcc
	v_add_u32_e32 v7, 0xffffff81, v6
	v_or_b32_e32 v12, 0x800000, v2
	v_add_u32_e32 v6, 20, v11
	v_cndmask_b32_e32 v13, v7, v8, vcc
	v_cndmask_b32_e32 v2, v12, v2, vcc
	v_lshlrev_b64 v[6:7], v6, -1
	v_not_b32_e32 v6, v6
	v_lshrrev_b64 v[16:17], v11, v[2:3]
	v_not_b32_e32 v7, v7
	v_and_b32_e32 v6, v2, v6
	v_add_u32_e32 v12, 19, v11
	v_lshrrev_b32_e32 v2, 23, v16
	v_and_b32_e32 v7, 0, v7
	v_lshlrev_b64 v[14:15], v12, 1
	v_add3_u32 v12, v11, v13, v2
	v_bfe_u32 v2, v16, 20, 1
	v_add_u32_e32 v2, -1, v2
	v_cmp_eq_u64_e32 vcc, v[6:7], v[14:15]
	v_cndmask_b32_e32 v2, 0, v2, vcc
	v_add_u32_e32 v2, v2, v16
	v_and_b32_e32 v2, 0xfffff, v2
	v_add_co_u32_e32 v6, vcc, v2, v16
	v_add_u32_e32 v11, 6, v12
	v_addc_co_u32_e32 v7, vcc, 0, v17, vcc
	v_cmp_ne_u32_e32 vcc, 0, v11
                                        ; implicit-def: $vgpr2
	s_and_saveexec_b64 s[0:1], vcc
	s_xor_b64 s[0:1], exec, s[0:1]
; %bb.11:                               ;   in Loop: Header=BB23_7 Depth=1
	v_add_u32_e32 v2, 7, v12
	v_cmp_lt_u64_e32 vcc, s[28:29], v[6:7]
	v_cndmask_b32_e32 v2, v11, v2, vcc
	v_cndmask_b32_e64 v11, 0, 1, vcc
	v_lshrrev_b64 v[6:7], v11, v[6:7]
; %bb.12:                               ;   in Loop: Header=BB23_7 Depth=1
	s_andn2_saveexec_b64 s[0:1], s[0:1]
; %bb.13:                               ;   in Loop: Header=BB23_7 Depth=1
	v_bfe_u32 v2, v6, 23, 1
; %bb.14:                               ;   in Loop: Header=BB23_7 Depth=1
	s_or_b64 exec, exec, s[0:1]
	v_lshrrev_b64 v[6:7], 20, v[6:7]
	v_cmp_gt_i32_e32 vcc, 16, v2
	v_cndmask_b32_e32 v7, 0, v7, vcc
	v_cndmask_b32_e32 v6, 7, v6, vcc
	v_cmp_ne_u32_e32 vcc, 0, v2
	v_cmp_ne_u64_e64 s[0:1], 0, v[6:7]
	s_or_b64 s[0:1], vcc, s[0:1]
                                        ; implicit-def: $vgpr7
	s_and_saveexec_b64 s[50:51], s[0:1]
	s_xor_b64 s[0:1], exec, s[50:51]
; %bb.15:                               ;   in Loop: Header=BB23_7 Depth=1
	v_min_i32_e32 v2, 15, v2
	v_lshl_or_b32 v2, v2, 3, v10
	v_and_or_b32 v7, v6, 7, v2
                                        ; implicit-def: $vgpr10
; %bb.16:                               ;   in Loop: Header=BB23_7 Depth=1
	s_andn2_saveexec_b64 s[0:1], s[0:1]
; %bb.17:                               ;   in Loop: Header=BB23_7 Depth=1
	v_mov_b32_e32 v7, v10
; %bb.18:                               ;   in Loop: Header=BB23_7 Depth=1
	s_or_b64 exec, exec, s[0:1]
.LBB23_19:                              ;   in Loop: Header=BB23_7 Depth=1
	s_or_b64 exec, exec, s[36:37]
.LBB23_20:                              ;   in Loop: Header=BB23_7 Depth=1
	s_andn2_saveexec_b64 s[0:1], s[34:35]
	s_or_b64 exec, exec, s[0:1]
                                        ; implicit-def: $vgpr6
.LBB23_21:                              ;   in Loop: Header=BB23_7 Depth=1
	s_andn2_saveexec_b64 s[0:1], s[30:31]
	s_cbranch_execz .LBB23_6
; %bb.22:                               ;   in Loop: Header=BB23_7 Depth=1
	v_or_b32_sdwa v6, v6, s48 dst_sel:DWORD dst_unused:UNUSED_PAD src0_sel:BYTE_3 src1_sel:DWORD
	v_cmp_eq_u64_e32 vcc, 0, v[2:3]
	v_cndmask_b32_e32 v7, v6, v7, vcc
	s_branch .LBB23_6
.LBB23_23:
	s_or_b64 exec, exec, s[14:15]
	v_cmp_gt_i32_e32 vcc, s13, v0
	s_and_saveexec_b64 s[0:1], vcc
	s_cbranch_execz .LBB23_42
; %bb.24:
	s_ashr_i32 s0, s11, 31
	s_mul_hi_u32 s1, s11, s6
	s_mul_i32 s0, s0, s6
	s_add_i32 s1, s1, s0
	s_mul_i32 s0, s11, s6
	s_ashr_i32 s6, s8, 31
	s_ashr_i32 s8, s9, 31
	s_mul_i32 s6, s16, s6
	s_mul_i32 s33, s33, s8
	s_add_i32 s6, s40, s6
	s_add_i32 s8, s38, s33
	;; [unrolled: 1-line block ×4, first 2 shown]
	s_ashr_i32 s9, s12, 31
	s_lshl_b64 s[0:1], s[0:1], 2
	s_waitcnt lgkmcnt(0)
	s_add_u32 s18, s18, s0
	s_addc_u32 s0, s19, s1
	s_add_u32 s1, s2, s17
	s_addc_u32 s2, s3, s6
	s_load_dword s3, s[4:5], 0x54
	s_load_dword s19, s[20:21], 0x0
	s_add_u32 s1, s1, s7
	s_addc_u32 s2, s2, s8
	s_add_u32 s12, s1, s12
	s_addc_u32 s20, s2, s9
	s_waitcnt lgkmcnt(0)
	s_and_b32 s21, s3, 0xffff
	s_mov_b64 s[2:3], 0
	v_mov_b32_e32 v6, s0
	v_mov_b32_e32 v3, 0
	s_movk_i32 s22, 0x80
	s_mov_b64 s[4:5], 0x7f800000
	s_mov_b64 s[6:7], 0x43e00001
	s_movk_i32 s23, 0x7a
	s_mov_b64 s[8:9], 0xffffff
	s_movk_i32 s24, 0x7f
	v_mov_b32_e32 v7, 0xffffff82
	v_mov_b32_e32 v8, 0x78
	s_branch .LBB23_26
.LBB23_25:                              ;   in Loop: Header=BB23_26 Depth=1
	s_or_b64 exec, exec, s[0:1]
	v_mov_b32_e32 v2, s20
	v_add_co_u32_e32 v10, vcc, s12, v0
	v_addc_co_u32_e32 v11, vcc, v2, v1, vcc
	v_add_u32_e32 v0, s21, v0
	v_cmp_le_i32_e32 vcc, s13, v0
	s_or_b64 s[2:3], vcc, s[2:3]
	global_store_byte v[10:11], v5, off
	s_andn2_b64 exec, exec, s[2:3]
	s_cbranch_execz .LBB23_42
.LBB23_26:                              ; =>This Inner Loop Header: Depth=1
	v_ashrrev_i32_e32 v1, 31, v0
	v_lshlrev_b64 v[4:5], 2, v[0:1]
	v_add_co_u32_e32 v4, vcc, s18, v4
	v_addc_co_u32_e32 v5, vcc, v6, v5, vcc
	global_load_dword v2, v[4:5], off
	v_mov_b32_e32 v11, v3
	s_waitcnt vmcnt(0)
	v_div_scale_f32 v4, s[0:1], s19, s19, v2
	v_rcp_f32_e32 v5, v4
	v_div_scale_f32 v9, vcc, v2, s19, v2
	v_fma_f32 v10, -v4, v5, 1.0
	v_fmac_f32_e32 v5, v10, v5
	v_mul_f32_e32 v10, v9, v5
	v_fma_f32 v12, -v4, v10, v9
	v_fmac_f32_e32 v10, v12, v5
	v_fma_f32 v4, -v4, v10, v9
	v_div_fmas_f32 v4, v4, v5, v10
	v_div_fixup_f32 v4, v4, s19, v2
	v_and_b32_sdwa v9, v4, s22 dst_sel:DWORD dst_unused:UNUSED_PAD src0_sel:BYTE_3 src1_sel:DWORD
	v_and_b32_e32 v10, 0x7f800000, v4
	v_and_b32_e32 v2, 0x7fffff, v4
	v_or_b32_e32 v5, 0x7e, v9
	v_cmp_ne_u64_e32 vcc, s[4:5], v[10:11]
	s_and_saveexec_b64 s[0:1], vcc
	s_xor_b64 s[10:11], exec, s[0:1]
	s_cbranch_execz .LBB23_40
; %bb.27:                               ;   in Loop: Header=BB23_26 Depth=1
	v_and_b32_e32 v10, 0x7fffffff, v4
	v_mov_b32_e32 v11, v3
	v_cmp_gt_u64_e32 vcc, s[6:7], v[10:11]
	s_and_saveexec_b64 s[0:1], vcc
	s_xor_b64 s[14:15], exec, s[0:1]
	s_cbranch_execz .LBB23_39
; %bb.28:                               ;   in Loop: Header=BB23_26 Depth=1
	v_cmp_ne_u32_e32 vcc, 0, v4
	v_mov_b32_e32 v5, 0
	s_and_saveexec_b64 s[16:17], vcc
	s_cbranch_execz .LBB23_38
; %bb.29:                               ;   in Loop: Header=BB23_26 Depth=1
	v_bfe_u32 v4, v4, 23, 8
	v_sub_u32_e32 v10, 0x79, v4
	v_cmp_gt_u32_e32 vcc, s23, v4
	v_cndmask_b32_e32 v10, 0, v10, vcc
	v_cmp_eq_u32_e32 vcc, 0, v4
	v_cndmask_b32_e32 v10, v10, v8, vcc
	v_add_u32_e32 v5, 0xffffff81, v4
	v_or_b32_e32 v11, 0x800000, v2
	v_add_u32_e32 v4, 20, v10
	v_cndmask_b32_e32 v16, v5, v7, vcc
	v_cndmask_b32_e32 v2, v11, v2, vcc
	v_lshlrev_b64 v[4:5], v4, -1
	v_not_b32_e32 v4, v4
	v_lshrrev_b64 v[14:15], v10, v[2:3]
	v_not_b32_e32 v5, v5
	v_and_b32_e32 v4, v2, v4
	v_add_u32_e32 v11, 19, v10
	v_lshrrev_b32_e32 v2, 23, v14
	v_and_b32_e32 v5, 0, v5
	v_lshlrev_b64 v[12:13], v11, 1
	v_add3_u32 v11, v10, v16, v2
	v_bfe_u32 v2, v14, 20, 1
	v_add_u32_e32 v2, -1, v2
	v_cmp_eq_u64_e32 vcc, v[4:5], v[12:13]
	v_cndmask_b32_e32 v2, 0, v2, vcc
	v_add_u32_e32 v2, v2, v14
	v_and_b32_e32 v2, 0xfffff, v2
	v_add_co_u32_e32 v4, vcc, v2, v14
	v_add_u32_e32 v10, 6, v11
	v_addc_co_u32_e32 v5, vcc, 0, v15, vcc
	v_cmp_ne_u32_e32 vcc, 0, v10
                                        ; implicit-def: $vgpr2
	s_and_saveexec_b64 s[0:1], vcc
	s_xor_b64 s[0:1], exec, s[0:1]
; %bb.30:                               ;   in Loop: Header=BB23_26 Depth=1
	v_add_u32_e32 v2, 7, v11
	v_cmp_lt_u64_e32 vcc, s[8:9], v[4:5]
	v_cndmask_b32_e32 v2, v10, v2, vcc
	v_cndmask_b32_e64 v10, 0, 1, vcc
	v_lshrrev_b64 v[4:5], v10, v[4:5]
; %bb.31:                               ;   in Loop: Header=BB23_26 Depth=1
	s_andn2_saveexec_b64 s[0:1], s[0:1]
; %bb.32:                               ;   in Loop: Header=BB23_26 Depth=1
	v_bfe_u32 v2, v4, 23, 1
; %bb.33:                               ;   in Loop: Header=BB23_26 Depth=1
	s_or_b64 exec, exec, s[0:1]
	v_lshrrev_b64 v[4:5], 20, v[4:5]
	v_cmp_gt_i32_e32 vcc, 16, v2
	v_cndmask_b32_e32 v5, 0, v5, vcc
	v_cndmask_b32_e32 v4, 7, v4, vcc
	v_cmp_ne_u32_e32 vcc, 0, v2
	v_cmp_ne_u64_e64 s[0:1], 0, v[4:5]
	s_or_b64 s[0:1], vcc, s[0:1]
                                        ; implicit-def: $vgpr5
	s_and_saveexec_b64 s[26:27], s[0:1]
	s_xor_b64 s[0:1], exec, s[26:27]
; %bb.34:                               ;   in Loop: Header=BB23_26 Depth=1
	v_min_i32_e32 v2, 15, v2
	v_lshl_or_b32 v2, v2, 3, v9
	v_and_or_b32 v5, v4, 7, v2
                                        ; implicit-def: $vgpr9
; %bb.35:                               ;   in Loop: Header=BB23_26 Depth=1
	s_andn2_saveexec_b64 s[0:1], s[0:1]
; %bb.36:                               ;   in Loop: Header=BB23_26 Depth=1
	v_mov_b32_e32 v5, v9
; %bb.37:                               ;   in Loop: Header=BB23_26 Depth=1
	s_or_b64 exec, exec, s[0:1]
.LBB23_38:                              ;   in Loop: Header=BB23_26 Depth=1
	s_or_b64 exec, exec, s[16:17]
.LBB23_39:                              ;   in Loop: Header=BB23_26 Depth=1
	s_andn2_saveexec_b64 s[0:1], s[14:15]
	s_or_b64 exec, exec, s[0:1]
                                        ; implicit-def: $vgpr4
.LBB23_40:                              ;   in Loop: Header=BB23_26 Depth=1
	s_andn2_saveexec_b64 s[0:1], s[10:11]
	s_cbranch_execz .LBB23_25
; %bb.41:                               ;   in Loop: Header=BB23_26 Depth=1
	v_or_b32_sdwa v4, v4, s24 dst_sel:DWORD dst_unused:UNUSED_PAD src0_sel:BYTE_3 src1_sel:DWORD
	v_cmp_eq_u64_e32 vcc, 0, v[2:3]
	v_cndmask_b32_e32 v5, v4, v5, vcc
	s_branch .LBB23_25
.LBB23_42:
	s_endpgm
.LBB23_43:
                                        ; implicit-def: $sgpr16_sgpr17
	s_load_dwordx2 s[2:3], s[4:5], 0x10
	s_branch .LBB23_3
	.section	.rodata,"a",@progbits
	.p2align	6, 0x0
	.amdhsa_kernel _ZN4vllm27concat_and_cache_mla_kernelIfhLNS_18Fp8KVCacheDataTypeE1EEEvPKT_S4_PT0_PKliiiiiiiPKf
		.amdhsa_group_segment_fixed_size 0
		.amdhsa_private_segment_fixed_size 0
		.amdhsa_kernarg_size 328
		.amdhsa_user_sgpr_count 6
		.amdhsa_user_sgpr_private_segment_buffer 1
		.amdhsa_user_sgpr_dispatch_ptr 0
		.amdhsa_user_sgpr_queue_ptr 0
		.amdhsa_user_sgpr_kernarg_segment_ptr 1
		.amdhsa_user_sgpr_dispatch_id 0
		.amdhsa_user_sgpr_flat_scratch_init 0
		.amdhsa_user_sgpr_kernarg_preload_length 0
		.amdhsa_user_sgpr_kernarg_preload_offset 0
		.amdhsa_user_sgpr_private_segment_size 0
		.amdhsa_uses_dynamic_stack 0
		.amdhsa_system_sgpr_private_segment_wavefront_offset 0
		.amdhsa_system_sgpr_workgroup_id_x 1
		.amdhsa_system_sgpr_workgroup_id_y 0
		.amdhsa_system_sgpr_workgroup_id_z 0
		.amdhsa_system_sgpr_workgroup_info 0
		.amdhsa_system_vgpr_workitem_id 0
		.amdhsa_next_free_vgpr 18
		.amdhsa_next_free_sgpr 52
		.amdhsa_accum_offset 20
		.amdhsa_reserve_vcc 1
		.amdhsa_reserve_flat_scratch 0
		.amdhsa_float_round_mode_32 0
		.amdhsa_float_round_mode_16_64 0
		.amdhsa_float_denorm_mode_32 3
		.amdhsa_float_denorm_mode_16_64 3
		.amdhsa_dx10_clamp 1
		.amdhsa_ieee_mode 1
		.amdhsa_fp16_overflow 0
		.amdhsa_tg_split 0
		.amdhsa_exception_fp_ieee_invalid_op 0
		.amdhsa_exception_fp_denorm_src 0
		.amdhsa_exception_fp_ieee_div_zero 0
		.amdhsa_exception_fp_ieee_overflow 0
		.amdhsa_exception_fp_ieee_underflow 0
		.amdhsa_exception_fp_ieee_inexact 0
		.amdhsa_exception_int_div_zero 0
	.end_amdhsa_kernel
	.section	.text._ZN4vllm27concat_and_cache_mla_kernelIfhLNS_18Fp8KVCacheDataTypeE1EEEvPKT_S4_PT0_PKliiiiiiiPKf,"axG",@progbits,_ZN4vllm27concat_and_cache_mla_kernelIfhLNS_18Fp8KVCacheDataTypeE1EEEvPKT_S4_PT0_PKliiiiiiiPKf,comdat
.Lfunc_end23:
	.size	_ZN4vllm27concat_and_cache_mla_kernelIfhLNS_18Fp8KVCacheDataTypeE1EEEvPKT_S4_PT0_PKliiiiiiiPKf, .Lfunc_end23-_ZN4vllm27concat_and_cache_mla_kernelIfhLNS_18Fp8KVCacheDataTypeE1EEEvPKT_S4_PT0_PKliiiiiiiPKf
                                        ; -- End function
	.section	.AMDGPU.csdata,"",@progbits
; Kernel info:
; codeLenInByte = 2384
; NumSgprs: 56
; NumVgprs: 18
; NumAgprs: 0
; TotalNumVgprs: 18
; ScratchSize: 0
; MemoryBound: 0
; FloatMode: 240
; IeeeMode: 1
; LDSByteSize: 0 bytes/workgroup (compile time only)
; SGPRBlocks: 6
; VGPRBlocks: 2
; NumSGPRsForWavesPerEU: 56
; NumVGPRsForWavesPerEU: 18
; AccumOffset: 20
; Occupancy: 8
; WaveLimiterHint : 0
; COMPUTE_PGM_RSRC2:SCRATCH_EN: 0
; COMPUTE_PGM_RSRC2:USER_SGPR: 6
; COMPUTE_PGM_RSRC2:TRAP_HANDLER: 0
; COMPUTE_PGM_RSRC2:TGID_X_EN: 1
; COMPUTE_PGM_RSRC2:TGID_Y_EN: 0
; COMPUTE_PGM_RSRC2:TGID_Z_EN: 0
; COMPUTE_PGM_RSRC2:TIDIG_COMP_CNT: 0
; COMPUTE_PGM_RSRC3_GFX90A:ACCUM_OFFSET: 4
; COMPUTE_PGM_RSRC3_GFX90A:TG_SPLIT: 0
	.section	.text._ZN4vllm27concat_and_cache_mla_kernelIthLNS_18Fp8KVCacheDataTypeE1EEEvPKT_S4_PT0_PKliiiiiiiPKf,"axG",@progbits,_ZN4vllm27concat_and_cache_mla_kernelIthLNS_18Fp8KVCacheDataTypeE1EEEvPKT_S4_PT0_PKliiiiiiiPKf,comdat
	.protected	_ZN4vllm27concat_and_cache_mla_kernelIthLNS_18Fp8KVCacheDataTypeE1EEEvPKT_S4_PT0_PKliiiiiiiPKf ; -- Begin function _ZN4vllm27concat_and_cache_mla_kernelIthLNS_18Fp8KVCacheDataTypeE1EEEvPKT_S4_PT0_PKliiiiiiiPKf
	.globl	_ZN4vllm27concat_and_cache_mla_kernelIthLNS_18Fp8KVCacheDataTypeE1EEEvPKT_S4_PT0_PKliiiiiiiPKf
	.p2align	8
	.type	_ZN4vllm27concat_and_cache_mla_kernelIthLNS_18Fp8KVCacheDataTypeE1EEEvPKT_S4_PT0_PKliiiiiiiPKf,@function
_ZN4vllm27concat_and_cache_mla_kernelIthLNS_18Fp8KVCacheDataTypeE1EEEvPKT_S4_PT0_PKliiiiiiiPKf: ; @_ZN4vllm27concat_and_cache_mla_kernelIthLNS_18Fp8KVCacheDataTypeE1EEEvPKT_S4_PT0_PKliiiiiiiPKf
; %bb.0:
	s_load_dwordx2 s[0:1], s[4:5], 0x18
	s_mov_b32 s7, 0
	s_lshl_b64 s[2:3], s[6:7], 3
	s_waitcnt lgkmcnt(0)
	s_add_u32 s0, s0, s2
	s_addc_u32 s1, s1, s3
	s_load_dwordx2 s[22:23], s[0:1], 0x0
	s_waitcnt lgkmcnt(0)
	v_cmp_lt_i64_e64 s[0:1], s[22:23], 0
	s_and_b64 vcc, exec, s[0:1]
	s_cbranch_vccnz .LBB24_42
; %bb.1:
	s_load_dwordx8 s[8:15], s[4:5], 0x20
	s_waitcnt lgkmcnt(0)
	s_ashr_i32 s15, s14, 31
	s_or_b64 s[0:1], s[22:23], s[14:15]
	s_mov_b32 s0, s7
	s_cmp_lg_u64 s[0:1], 0
	s_cbranch_scc0 .LBB24_43
; %bb.2:
	s_add_u32 s0, s14, s15
	s_mov_b32 s2, s15
	s_mov_b32 s3, s15
	s_addc_u32 s1, s15, s15
	s_xor_b64 s[16:17], s[0:1], s[2:3]
	v_cvt_f32_u32_e32 v1, s16
	v_cvt_f32_u32_e32 v2, s17
	s_sub_u32 s0, 0, s16
	s_subb_u32 s1, 0, s17
	v_madmk_f32 v1, v2, 0x4f800000, v1
	v_rcp_f32_e32 v1, v1
	v_mul_f32_e32 v1, 0x5f7ffffc, v1
	v_mul_f32_e32 v2, 0x2f800000, v1
	v_trunc_f32_e32 v2, v2
	v_madmk_f32 v1, v2, 0xcf800000, v1
	v_cvt_u32_f32_e32 v2, v2
	v_cvt_u32_f32_e32 v1, v1
	v_readfirstlane_b32 s7, v2
	v_readfirstlane_b32 s20, v1
	s_mul_i32 s21, s0, s7
	s_mul_hi_u32 s25, s0, s20
	s_mul_i32 s24, s1, s20
	s_add_i32 s21, s25, s21
	s_add_i32 s21, s21, s24
	s_mul_i32 s26, s0, s20
	s_mul_hi_u32 s24, s20, s21
	s_mul_i32 s25, s20, s21
	s_mul_hi_u32 s20, s20, s26
	s_add_u32 s20, s20, s25
	s_addc_u32 s24, 0, s24
	s_mul_hi_u32 s27, s7, s26
	s_mul_i32 s26, s7, s26
	s_add_u32 s20, s20, s26
	s_mul_hi_u32 s25, s7, s21
	s_addc_u32 s20, s24, s27
	s_addc_u32 s24, s25, 0
	s_mul_i32 s21, s7, s21
	s_add_u32 s20, s20, s21
	s_addc_u32 s21, 0, s24
	v_add_co_u32_e32 v1, vcc, s20, v1
	s_cmp_lg_u64 vcc, 0
	s_addc_u32 s7, s7, s21
	v_readfirstlane_b32 s21, v1
	s_mul_i32 s20, s0, s7
	s_mul_hi_u32 s24, s0, s21
	s_add_i32 s20, s24, s20
	s_mul_i32 s1, s1, s21
	s_add_i32 s20, s20, s1
	s_mul_i32 s0, s0, s21
	s_mul_hi_u32 s24, s7, s0
	s_mul_i32 s25, s7, s0
	s_mul_i32 s27, s21, s20
	s_mul_hi_u32 s0, s21, s0
	s_mul_hi_u32 s26, s21, s20
	s_add_u32 s0, s0, s27
	s_addc_u32 s21, 0, s26
	s_add_u32 s0, s0, s25
	s_mul_hi_u32 s1, s7, s20
	s_addc_u32 s0, s21, s24
	s_addc_u32 s1, s1, 0
	s_mul_i32 s20, s7, s20
	s_add_u32 s0, s0, s20
	s_addc_u32 s1, 0, s1
	v_add_co_u32_e32 v1, vcc, s0, v1
	s_cmp_lg_u64 vcc, 0
	s_addc_u32 s7, s7, s1
	s_ashr_i32 s20, s23, 31
	s_add_u32 s0, s22, s20
	s_mov_b32 s21, s20
	s_addc_u32 s1, s23, s20
	s_xor_b64 s[24:25], s[0:1], s[20:21]
	v_readfirstlane_b32 s26, v1
	s_mul_i32 s1, s24, s7
	s_mul_hi_u32 s27, s24, s26
	s_mul_hi_u32 s0, s24, s7
	s_add_u32 s1, s27, s1
	s_addc_u32 s0, 0, s0
	s_mul_hi_u32 s28, s25, s26
	s_mul_i32 s26, s25, s26
	s_add_u32 s1, s1, s26
	s_mul_hi_u32 s27, s25, s7
	s_addc_u32 s0, s0, s28
	s_addc_u32 s1, s27, 0
	s_mul_i32 s7, s25, s7
	s_add_u32 s7, s0, s7
	s_addc_u32 s26, 0, s1
	s_mul_i32 s0, s16, s26
	s_mul_hi_u32 s1, s16, s7
	s_add_i32 s0, s1, s0
	s_mul_i32 s1, s17, s7
	s_add_i32 s27, s0, s1
	s_mul_i32 s1, s16, s7
	v_mov_b32_e32 v1, s1
	s_sub_i32 s0, s25, s27
	v_sub_co_u32_e32 v1, vcc, s24, v1
	s_cmp_lg_u64 vcc, 0
	s_subb_u32 s24, s0, s17
	v_subrev_co_u32_e64 v2, s[0:1], s16, v1
	s_cmp_lg_u64 s[0:1], 0
	s_subb_u32 s0, s24, 0
	s_cmp_ge_u32 s0, s17
	v_readfirstlane_b32 s24, v2
	s_cselect_b32 s1, -1, 0
	s_cmp_ge_u32 s24, s16
	s_cselect_b32 s24, -1, 0
	s_cmp_eq_u32 s0, s17
	s_cselect_b32 s0, s24, s1
	s_add_u32 s1, s7, 1
	s_addc_u32 s24, s26, 0
	s_add_u32 s28, s7, 2
	s_addc_u32 s29, s26, 0
	s_cmp_lg_u32 s0, 0
	s_cselect_b32 s0, s28, s1
	s_cselect_b32 s1, s29, s24
	s_cmp_lg_u64 vcc, 0
	s_subb_u32 s24, s25, s27
	s_cmp_ge_u32 s24, s17
	v_readfirstlane_b32 s27, v1
	s_cselect_b32 s25, -1, 0
	s_cmp_ge_u32 s27, s16
	s_cselect_b32 s16, -1, 0
	s_cmp_eq_u32 s24, s17
	s_cselect_b32 s16, s16, s25
	s_cmp_lg_u32 s16, 0
	s_cselect_b32 s1, s1, s26
	s_cselect_b32 s0, s0, s7
	s_xor_b64 s[2:3], s[20:21], s[2:3]
	s_xor_b64 s[0:1], s[0:1], s[2:3]
	s_sub_u32 s16, s0, s2
	s_subb_u32 s17, s1, s3
	s_load_dwordx2 s[2:3], s[4:5], 0x10
	s_cbranch_execnz .LBB24_4
.LBB24_3:
	v_cvt_f32_u32_e32 v1, s14
	s_sub_i32 s0, 0, s14
	s_mov_b32 s17, 0
	v_rcp_iflag_f32_e32 v1, v1
	v_mul_f32_e32 v1, 0x4f7ffffe, v1
	v_cvt_u32_f32_e32 v1, v1
	v_readfirstlane_b32 s1, v1
	s_mul_i32 s0, s0, s1
	s_mul_hi_u32 s0, s1, s0
	s_add_i32 s1, s1, s0
	s_mul_hi_u32 s0, s22, s1
	s_mul_i32 s7, s0, s14
	s_sub_i32 s7, s22, s7
	s_add_i32 s1, s0, 1
	s_sub_i32 s16, s7, s14
	s_cmp_ge_u32 s7, s14
	s_cselect_b32 s0, s1, s0
	s_cselect_b32 s7, s16, s7
	s_add_i32 s1, s0, 1
	s_cmp_ge_u32 s7, s14
	s_cselect_b32 s16, s1, s0
.LBB24_4:
	s_mul_i32 s0, s16, s15
	s_mul_hi_u32 s1, s16, s14
	s_load_dwordx2 s[18:19], s[4:5], 0x8
	s_load_dwordx2 s[20:21], s[4:5], 0x40
	s_add_i32 s0, s1, s0
	s_mul_i32 s1, s17, s14
	s_add_i32 s0, s0, s1
	s_mul_i32 s1, s16, s14
	s_sub_u32 s33, s22, s1
	s_subb_u32 s39, s23, s0
	v_cmp_gt_i32_e32 vcc, s12, v0
	s_mul_hi_u32 s40, s16, s8
	s_mul_i32 s41, s17, s8
	s_mul_i32 s17, s16, s8
	s_mul_hi_u32 s38, s33, s9
	s_mul_i32 s39, s39, s9
	s_mul_i32 s7, s33, s9
	s_and_saveexec_b64 s[14:15], vcc
	s_cbranch_execz .LBB24_23
; %bb.5:
	s_ashr_i32 s0, s10, 31
	s_mul_hi_u32 s1, s10, s6
	s_mul_i32 s0, s0, s6
	s_add_i32 s1, s1, s0
	s_mul_i32 s0, s10, s6
	s_ashr_i32 s10, s8, 31
	s_mul_i32 s10, s16, s10
	s_add_i32 s10, s40, s10
	s_load_dwordx2 s[22:23], s[4:5], 0x0
	s_load_dword s26, s[4:5], 0x54
	s_add_i32 s24, s10, s41
	s_ashr_i32 s10, s9, 31
	s_mul_i32 s10, s33, s10
	s_add_i32 s10, s38, s10
	s_add_i32 s25, s10, s39
	s_lshl_b64 s[0:1], s[0:1], 1
	s_waitcnt lgkmcnt(0)
	s_add_u32 s10, s22, s0
	s_addc_u32 s0, s23, s1
	s_load_dword s42, s[20:21], 0x0
	s_add_u32 s1, s2, s17
	s_addc_u32 s22, s3, s24
	s_add_u32 s43, s1, s7
	s_addc_u32 s44, s22, s25
	s_and_b32 s45, s26, 0xffff
	s_mov_b64 s[22:23], 0
	v_mov_b32_e32 v1, s0
	v_mov_b32_e32 v3, 0
	s_movk_i32 s46, 0x80
	s_mov_b64 s[24:25], 0x7f800000
	s_mov_b64 s[26:27], 0x43e00001
	s_movk_i32 s47, 0x7a
	s_mov_b64 s[28:29], 0xffffff
	s_movk_i32 s48, 0x7f
	v_mov_b32_e32 v8, 0xffffff82
	v_mov_b32_e32 v9, 0x78
	;; [unrolled: 1-line block ×3, first 2 shown]
	s_branch .LBB24_7
.LBB24_6:                               ;   in Loop: Header=BB24_7 Depth=1
	s_or_b64 exec, exec, s[0:1]
	v_mov_b32_e32 v2, s44
	v_add_co_u32_e32 v10, vcc, s43, v4
	v_addc_co_u32_e32 v11, vcc, v2, v5, vcc
	v_add_u32_e32 v4, s45, v4
	v_cmp_le_i32_e32 vcc, s12, v4
	s_or_b64 s[22:23], vcc, s[22:23]
	global_store_byte v[10:11], v7, off
	s_andn2_b64 exec, exec, s[22:23]
	s_cbranch_execz .LBB24_23
.LBB24_7:                               ; =>This Inner Loop Header: Depth=1
	v_ashrrev_i32_e32 v5, 31, v4
	v_lshlrev_b64 v[6:7], 1, v[4:5]
	v_add_co_u32_e32 v6, vcc, s10, v6
	v_addc_co_u32_e32 v7, vcc, v1, v7, vcc
	global_load_ushort v2, v[6:7], off
	v_mov_b32_e32 v13, v3
	s_waitcnt vmcnt(0)
	v_cvt_f32_f16_e32 v2, v2
	s_waitcnt lgkmcnt(0)
	v_div_scale_f32 v6, s[0:1], s42, s42, v2
	v_rcp_f32_e32 v7, v6
	v_div_scale_f32 v10, vcc, v2, s42, v2
	v_fma_f32 v11, -v6, v7, 1.0
	v_fmac_f32_e32 v7, v11, v7
	v_mul_f32_e32 v11, v10, v7
	v_fma_f32 v12, -v6, v11, v10
	v_fmac_f32_e32 v11, v12, v7
	v_fma_f32 v6, -v6, v11, v10
	v_div_fmas_f32 v6, v6, v7, v11
	v_div_fixup_f32 v2, v6, s42, v2
	v_cvt_f16_f32_e32 v2, v2
	v_cvt_f32_f16_e32 v6, v2
	v_and_b32_sdwa v10, v6, s46 dst_sel:DWORD dst_unused:UNUSED_PAD src0_sel:BYTE_3 src1_sel:DWORD
	v_and_b32_e32 v12, 0x7f800000, v6
	v_and_b32_e32 v2, 0x7fffff, v6
	v_or_b32_e32 v7, 0x7e, v10
	v_cmp_ne_u64_e32 vcc, s[24:25], v[12:13]
	s_and_saveexec_b64 s[0:1], vcc
	s_xor_b64 s[30:31], exec, s[0:1]
	s_cbranch_execz .LBB24_21
; %bb.8:                                ;   in Loop: Header=BB24_7 Depth=1
	v_and_b32_e32 v12, 0x7fffffff, v6
	v_mov_b32_e32 v13, v3
	v_cmp_gt_u64_e32 vcc, s[26:27], v[12:13]
	s_and_saveexec_b64 s[0:1], vcc
	s_xor_b64 s[34:35], exec, s[0:1]
	s_cbranch_execz .LBB24_20
; %bb.9:                                ;   in Loop: Header=BB24_7 Depth=1
	v_cmp_ne_u32_e32 vcc, 0, v6
	v_mov_b32_e32 v7, 0
	s_and_saveexec_b64 s[36:37], vcc
	s_cbranch_execz .LBB24_19
; %bb.10:                               ;   in Loop: Header=BB24_7 Depth=1
	v_bfe_u32 v6, v6, 23, 8
	v_sub_u32_e32 v11, 0x79, v6
	v_cmp_gt_u32_e32 vcc, s47, v6
	v_cndmask_b32_e32 v11, 0, v11, vcc
	v_cmp_eq_u32_e32 vcc, 0, v6
	v_cndmask_b32_e32 v11, v11, v9, vcc
	v_add_u32_e32 v7, 0xffffff81, v6
	v_or_b32_e32 v12, 0x800000, v2
	v_add_u32_e32 v6, 20, v11
	v_cndmask_b32_e32 v13, v7, v8, vcc
	v_cndmask_b32_e32 v2, v12, v2, vcc
	v_lshlrev_b64 v[6:7], v6, -1
	v_not_b32_e32 v6, v6
	v_lshrrev_b64 v[16:17], v11, v[2:3]
	v_not_b32_e32 v7, v7
	v_and_b32_e32 v6, v2, v6
	v_add_u32_e32 v12, 19, v11
	v_lshrrev_b32_e32 v2, 23, v16
	v_and_b32_e32 v7, 0, v7
	v_lshlrev_b64 v[14:15], v12, 1
	v_add3_u32 v12, v11, v13, v2
	v_bfe_u32 v2, v16, 20, 1
	v_add_u32_e32 v2, -1, v2
	v_cmp_eq_u64_e32 vcc, v[6:7], v[14:15]
	v_cndmask_b32_e32 v2, 0, v2, vcc
	v_add_u32_e32 v2, v2, v16
	v_and_b32_e32 v2, 0xfffff, v2
	v_add_co_u32_e32 v6, vcc, v2, v16
	v_add_u32_e32 v11, 6, v12
	v_addc_co_u32_e32 v7, vcc, 0, v17, vcc
	v_cmp_ne_u32_e32 vcc, 0, v11
                                        ; implicit-def: $vgpr2
	s_and_saveexec_b64 s[0:1], vcc
	s_xor_b64 s[0:1], exec, s[0:1]
; %bb.11:                               ;   in Loop: Header=BB24_7 Depth=1
	v_add_u32_e32 v2, 7, v12
	v_cmp_lt_u64_e32 vcc, s[28:29], v[6:7]
	v_cndmask_b32_e32 v2, v11, v2, vcc
	v_cndmask_b32_e64 v11, 0, 1, vcc
	v_lshrrev_b64 v[6:7], v11, v[6:7]
; %bb.12:                               ;   in Loop: Header=BB24_7 Depth=1
	s_andn2_saveexec_b64 s[0:1], s[0:1]
; %bb.13:                               ;   in Loop: Header=BB24_7 Depth=1
	v_bfe_u32 v2, v6, 23, 1
; %bb.14:                               ;   in Loop: Header=BB24_7 Depth=1
	s_or_b64 exec, exec, s[0:1]
	v_lshrrev_b64 v[6:7], 20, v[6:7]
	v_cmp_gt_i32_e32 vcc, 16, v2
	v_cndmask_b32_e32 v7, 0, v7, vcc
	v_cndmask_b32_e32 v6, 7, v6, vcc
	v_cmp_ne_u32_e32 vcc, 0, v2
	v_cmp_ne_u64_e64 s[0:1], 0, v[6:7]
	s_or_b64 s[0:1], vcc, s[0:1]
                                        ; implicit-def: $vgpr7
	s_and_saveexec_b64 s[50:51], s[0:1]
	s_xor_b64 s[0:1], exec, s[50:51]
; %bb.15:                               ;   in Loop: Header=BB24_7 Depth=1
	v_min_i32_e32 v2, 15, v2
	v_lshl_or_b32 v2, v2, 3, v10
	v_and_or_b32 v7, v6, 7, v2
                                        ; implicit-def: $vgpr10
; %bb.16:                               ;   in Loop: Header=BB24_7 Depth=1
	s_andn2_saveexec_b64 s[0:1], s[0:1]
; %bb.17:                               ;   in Loop: Header=BB24_7 Depth=1
	v_mov_b32_e32 v7, v10
; %bb.18:                               ;   in Loop: Header=BB24_7 Depth=1
	s_or_b64 exec, exec, s[0:1]
.LBB24_19:                              ;   in Loop: Header=BB24_7 Depth=1
	s_or_b64 exec, exec, s[36:37]
.LBB24_20:                              ;   in Loop: Header=BB24_7 Depth=1
	s_andn2_saveexec_b64 s[0:1], s[34:35]
	s_or_b64 exec, exec, s[0:1]
                                        ; implicit-def: $vgpr6
.LBB24_21:                              ;   in Loop: Header=BB24_7 Depth=1
	s_andn2_saveexec_b64 s[0:1], s[30:31]
	s_cbranch_execz .LBB24_6
; %bb.22:                               ;   in Loop: Header=BB24_7 Depth=1
	v_or_b32_sdwa v6, v6, s48 dst_sel:DWORD dst_unused:UNUSED_PAD src0_sel:BYTE_3 src1_sel:DWORD
	v_cmp_eq_u64_e32 vcc, 0, v[2:3]
	v_cndmask_b32_e32 v7, v6, v7, vcc
	s_branch .LBB24_6
.LBB24_23:
	s_or_b64 exec, exec, s[14:15]
	v_cmp_gt_i32_e32 vcc, s13, v0
	s_and_saveexec_b64 s[0:1], vcc
	s_cbranch_execz .LBB24_42
; %bb.24:
	s_ashr_i32 s0, s11, 31
	s_mul_hi_u32 s1, s11, s6
	s_mul_i32 s0, s0, s6
	s_add_i32 s1, s1, s0
	s_mul_i32 s0, s11, s6
	s_ashr_i32 s6, s8, 31
	s_ashr_i32 s8, s9, 31
	s_mul_i32 s6, s16, s6
	s_mul_i32 s33, s33, s8
	s_add_i32 s6, s40, s6
	s_add_i32 s8, s38, s33
	;; [unrolled: 1-line block ×4, first 2 shown]
	s_ashr_i32 s9, s12, 31
	s_lshl_b64 s[0:1], s[0:1], 1
	s_waitcnt lgkmcnt(0)
	s_add_u32 s18, s18, s0
	s_addc_u32 s0, s19, s1
	s_add_u32 s1, s2, s17
	s_addc_u32 s2, s3, s6
	s_load_dword s3, s[4:5], 0x54
	s_load_dword s19, s[20:21], 0x0
	s_add_u32 s1, s1, s7
	s_addc_u32 s2, s2, s8
	s_add_u32 s12, s1, s12
	s_addc_u32 s20, s2, s9
	s_waitcnt lgkmcnt(0)
	s_and_b32 s21, s3, 0xffff
	s_mov_b64 s[2:3], 0
	v_mov_b32_e32 v6, s0
	v_mov_b32_e32 v3, 0
	s_movk_i32 s22, 0x80
	s_mov_b64 s[4:5], 0x7f800000
	s_mov_b64 s[6:7], 0x43e00001
	s_movk_i32 s23, 0x7a
	s_mov_b64 s[8:9], 0xffffff
	s_movk_i32 s24, 0x7f
	v_mov_b32_e32 v7, 0xffffff82
	v_mov_b32_e32 v8, 0x78
	s_branch .LBB24_26
.LBB24_25:                              ;   in Loop: Header=BB24_26 Depth=1
	s_or_b64 exec, exec, s[0:1]
	v_mov_b32_e32 v2, s20
	v_add_co_u32_e32 v10, vcc, s12, v0
	v_addc_co_u32_e32 v11, vcc, v2, v1, vcc
	v_add_u32_e32 v0, s21, v0
	v_cmp_le_i32_e32 vcc, s13, v0
	s_or_b64 s[2:3], vcc, s[2:3]
	global_store_byte v[10:11], v5, off
	s_andn2_b64 exec, exec, s[2:3]
	s_cbranch_execz .LBB24_42
.LBB24_26:                              ; =>This Inner Loop Header: Depth=1
	v_ashrrev_i32_e32 v1, 31, v0
	v_lshlrev_b64 v[4:5], 1, v[0:1]
	v_add_co_u32_e32 v4, vcc, s18, v4
	v_addc_co_u32_e32 v5, vcc, v6, v5, vcc
	global_load_ushort v2, v[4:5], off
	s_waitcnt vmcnt(0)
	v_cvt_f32_f16_e32 v2, v2
	v_div_scale_f32 v4, s[0:1], s19, s19, v2
	v_rcp_f32_e32 v5, v4
	v_div_scale_f32 v9, vcc, v2, s19, v2
	v_fma_f32 v10, -v4, v5, 1.0
	v_fmac_f32_e32 v5, v10, v5
	v_mul_f32_e32 v10, v9, v5
	v_fma_f32 v11, -v4, v10, v9
	v_fmac_f32_e32 v10, v11, v5
	v_fma_f32 v4, -v4, v10, v9
	v_div_fmas_f32 v4, v4, v5, v10
	v_div_fixup_f32 v2, v4, s19, v2
	v_cvt_f16_f32_e32 v2, v2
	v_mov_b32_e32 v11, v3
	v_cvt_f32_f16_e32 v4, v2
	v_and_b32_sdwa v9, v4, s22 dst_sel:DWORD dst_unused:UNUSED_PAD src0_sel:BYTE_3 src1_sel:DWORD
	v_and_b32_e32 v10, 0x7f800000, v4
	v_and_b32_e32 v2, 0x7fffff, v4
	v_or_b32_e32 v5, 0x7e, v9
	v_cmp_ne_u64_e32 vcc, s[4:5], v[10:11]
	s_and_saveexec_b64 s[0:1], vcc
	s_xor_b64 s[10:11], exec, s[0:1]
	s_cbranch_execz .LBB24_40
; %bb.27:                               ;   in Loop: Header=BB24_26 Depth=1
	v_and_b32_e32 v10, 0x7fffffff, v4
	v_mov_b32_e32 v11, v3
	v_cmp_gt_u64_e32 vcc, s[6:7], v[10:11]
	s_and_saveexec_b64 s[0:1], vcc
	s_xor_b64 s[14:15], exec, s[0:1]
	s_cbranch_execz .LBB24_39
; %bb.28:                               ;   in Loop: Header=BB24_26 Depth=1
	v_cmp_ne_u32_e32 vcc, 0, v4
	v_mov_b32_e32 v5, 0
	s_and_saveexec_b64 s[16:17], vcc
	s_cbranch_execz .LBB24_38
; %bb.29:                               ;   in Loop: Header=BB24_26 Depth=1
	v_bfe_u32 v4, v4, 23, 8
	v_sub_u32_e32 v10, 0x79, v4
	v_cmp_gt_u32_e32 vcc, s23, v4
	v_cndmask_b32_e32 v10, 0, v10, vcc
	v_cmp_eq_u32_e32 vcc, 0, v4
	v_cndmask_b32_e32 v10, v10, v8, vcc
	v_add_u32_e32 v5, 0xffffff81, v4
	v_or_b32_e32 v11, 0x800000, v2
	v_add_u32_e32 v4, 20, v10
	v_cndmask_b32_e32 v16, v5, v7, vcc
	v_cndmask_b32_e32 v2, v11, v2, vcc
	v_lshlrev_b64 v[4:5], v4, -1
	v_not_b32_e32 v4, v4
	v_lshrrev_b64 v[14:15], v10, v[2:3]
	v_not_b32_e32 v5, v5
	v_and_b32_e32 v4, v2, v4
	v_add_u32_e32 v11, 19, v10
	v_lshrrev_b32_e32 v2, 23, v14
	v_and_b32_e32 v5, 0, v5
	v_lshlrev_b64 v[12:13], v11, 1
	v_add3_u32 v11, v10, v16, v2
	v_bfe_u32 v2, v14, 20, 1
	v_add_u32_e32 v2, -1, v2
	v_cmp_eq_u64_e32 vcc, v[4:5], v[12:13]
	v_cndmask_b32_e32 v2, 0, v2, vcc
	v_add_u32_e32 v2, v2, v14
	v_and_b32_e32 v2, 0xfffff, v2
	v_add_co_u32_e32 v4, vcc, v2, v14
	v_add_u32_e32 v10, 6, v11
	v_addc_co_u32_e32 v5, vcc, 0, v15, vcc
	v_cmp_ne_u32_e32 vcc, 0, v10
                                        ; implicit-def: $vgpr2
	s_and_saveexec_b64 s[0:1], vcc
	s_xor_b64 s[0:1], exec, s[0:1]
; %bb.30:                               ;   in Loop: Header=BB24_26 Depth=1
	v_add_u32_e32 v2, 7, v11
	v_cmp_lt_u64_e32 vcc, s[8:9], v[4:5]
	v_cndmask_b32_e32 v2, v10, v2, vcc
	v_cndmask_b32_e64 v10, 0, 1, vcc
	v_lshrrev_b64 v[4:5], v10, v[4:5]
; %bb.31:                               ;   in Loop: Header=BB24_26 Depth=1
	s_andn2_saveexec_b64 s[0:1], s[0:1]
; %bb.32:                               ;   in Loop: Header=BB24_26 Depth=1
	v_bfe_u32 v2, v4, 23, 1
; %bb.33:                               ;   in Loop: Header=BB24_26 Depth=1
	s_or_b64 exec, exec, s[0:1]
	v_lshrrev_b64 v[4:5], 20, v[4:5]
	v_cmp_gt_i32_e32 vcc, 16, v2
	v_cndmask_b32_e32 v5, 0, v5, vcc
	v_cndmask_b32_e32 v4, 7, v4, vcc
	v_cmp_ne_u32_e32 vcc, 0, v2
	v_cmp_ne_u64_e64 s[0:1], 0, v[4:5]
	s_or_b64 s[0:1], vcc, s[0:1]
                                        ; implicit-def: $vgpr5
	s_and_saveexec_b64 s[26:27], s[0:1]
	s_xor_b64 s[0:1], exec, s[26:27]
; %bb.34:                               ;   in Loop: Header=BB24_26 Depth=1
	v_min_i32_e32 v2, 15, v2
	v_lshl_or_b32 v2, v2, 3, v9
	v_and_or_b32 v5, v4, 7, v2
                                        ; implicit-def: $vgpr9
; %bb.35:                               ;   in Loop: Header=BB24_26 Depth=1
	s_andn2_saveexec_b64 s[0:1], s[0:1]
; %bb.36:                               ;   in Loop: Header=BB24_26 Depth=1
	v_mov_b32_e32 v5, v9
; %bb.37:                               ;   in Loop: Header=BB24_26 Depth=1
	s_or_b64 exec, exec, s[0:1]
.LBB24_38:                              ;   in Loop: Header=BB24_26 Depth=1
	s_or_b64 exec, exec, s[16:17]
.LBB24_39:                              ;   in Loop: Header=BB24_26 Depth=1
	s_andn2_saveexec_b64 s[0:1], s[14:15]
	s_or_b64 exec, exec, s[0:1]
                                        ; implicit-def: $vgpr4
.LBB24_40:                              ;   in Loop: Header=BB24_26 Depth=1
	s_andn2_saveexec_b64 s[0:1], s[10:11]
	s_cbranch_execz .LBB24_25
; %bb.41:                               ;   in Loop: Header=BB24_26 Depth=1
	v_or_b32_sdwa v4, v4, s24 dst_sel:DWORD dst_unused:UNUSED_PAD src0_sel:BYTE_3 src1_sel:DWORD
	v_cmp_eq_u64_e32 vcc, 0, v[2:3]
	v_cndmask_b32_e32 v5, v4, v5, vcc
	s_branch .LBB24_25
.LBB24_42:
	s_endpgm
.LBB24_43:
                                        ; implicit-def: $sgpr16_sgpr17
	s_load_dwordx2 s[2:3], s[4:5], 0x10
	s_branch .LBB24_3
	.section	.rodata,"a",@progbits
	.p2align	6, 0x0
	.amdhsa_kernel _ZN4vllm27concat_and_cache_mla_kernelIthLNS_18Fp8KVCacheDataTypeE1EEEvPKT_S4_PT0_PKliiiiiiiPKf
		.amdhsa_group_segment_fixed_size 0
		.amdhsa_private_segment_fixed_size 0
		.amdhsa_kernarg_size 328
		.amdhsa_user_sgpr_count 6
		.amdhsa_user_sgpr_private_segment_buffer 1
		.amdhsa_user_sgpr_dispatch_ptr 0
		.amdhsa_user_sgpr_queue_ptr 0
		.amdhsa_user_sgpr_kernarg_segment_ptr 1
		.amdhsa_user_sgpr_dispatch_id 0
		.amdhsa_user_sgpr_flat_scratch_init 0
		.amdhsa_user_sgpr_kernarg_preload_length 0
		.amdhsa_user_sgpr_kernarg_preload_offset 0
		.amdhsa_user_sgpr_private_segment_size 0
		.amdhsa_uses_dynamic_stack 0
		.amdhsa_system_sgpr_private_segment_wavefront_offset 0
		.amdhsa_system_sgpr_workgroup_id_x 1
		.amdhsa_system_sgpr_workgroup_id_y 0
		.amdhsa_system_sgpr_workgroup_id_z 0
		.amdhsa_system_sgpr_workgroup_info 0
		.amdhsa_system_vgpr_workitem_id 0
		.amdhsa_next_free_vgpr 18
		.amdhsa_next_free_sgpr 52
		.amdhsa_accum_offset 20
		.amdhsa_reserve_vcc 1
		.amdhsa_reserve_flat_scratch 0
		.amdhsa_float_round_mode_32 0
		.amdhsa_float_round_mode_16_64 0
		.amdhsa_float_denorm_mode_32 3
		.amdhsa_float_denorm_mode_16_64 3
		.amdhsa_dx10_clamp 1
		.amdhsa_ieee_mode 1
		.amdhsa_fp16_overflow 0
		.amdhsa_tg_split 0
		.amdhsa_exception_fp_ieee_invalid_op 0
		.amdhsa_exception_fp_denorm_src 0
		.amdhsa_exception_fp_ieee_div_zero 0
		.amdhsa_exception_fp_ieee_overflow 0
		.amdhsa_exception_fp_ieee_underflow 0
		.amdhsa_exception_fp_ieee_inexact 0
		.amdhsa_exception_int_div_zero 0
	.end_amdhsa_kernel
	.section	.text._ZN4vllm27concat_and_cache_mla_kernelIthLNS_18Fp8KVCacheDataTypeE1EEEvPKT_S4_PT0_PKliiiiiiiPKf,"axG",@progbits,_ZN4vllm27concat_and_cache_mla_kernelIthLNS_18Fp8KVCacheDataTypeE1EEEvPKT_S4_PT0_PKliiiiiiiPKf,comdat
.Lfunc_end24:
	.size	_ZN4vllm27concat_and_cache_mla_kernelIthLNS_18Fp8KVCacheDataTypeE1EEEvPKT_S4_PT0_PKliiiiiiiPKf, .Lfunc_end24-_ZN4vllm27concat_and_cache_mla_kernelIthLNS_18Fp8KVCacheDataTypeE1EEEvPKT_S4_PT0_PKliiiiiiiPKf
                                        ; -- End function
	.section	.AMDGPU.csdata,"",@progbits
; Kernel info:
; codeLenInByte = 2412
; NumSgprs: 56
; NumVgprs: 18
; NumAgprs: 0
; TotalNumVgprs: 18
; ScratchSize: 0
; MemoryBound: 0
; FloatMode: 240
; IeeeMode: 1
; LDSByteSize: 0 bytes/workgroup (compile time only)
; SGPRBlocks: 6
; VGPRBlocks: 2
; NumSGPRsForWavesPerEU: 56
; NumVGPRsForWavesPerEU: 18
; AccumOffset: 20
; Occupancy: 8
; WaveLimiterHint : 0
; COMPUTE_PGM_RSRC2:SCRATCH_EN: 0
; COMPUTE_PGM_RSRC2:USER_SGPR: 6
; COMPUTE_PGM_RSRC2:TRAP_HANDLER: 0
; COMPUTE_PGM_RSRC2:TGID_X_EN: 1
; COMPUTE_PGM_RSRC2:TGID_Y_EN: 0
; COMPUTE_PGM_RSRC2:TGID_Z_EN: 0
; COMPUTE_PGM_RSRC2:TIDIG_COMP_CNT: 0
; COMPUTE_PGM_RSRC3_GFX90A:ACCUM_OFFSET: 4
; COMPUTE_PGM_RSRC3_GFX90A:TG_SPLIT: 0
	.section	.text._ZN4vllm27concat_and_cache_mla_kernelI14__hip_bfloat16hLNS_18Fp8KVCacheDataTypeE1EEEvPKT_S5_PT0_PKliiiiiiiPKf,"axG",@progbits,_ZN4vllm27concat_and_cache_mla_kernelI14__hip_bfloat16hLNS_18Fp8KVCacheDataTypeE1EEEvPKT_S5_PT0_PKliiiiiiiPKf,comdat
	.protected	_ZN4vllm27concat_and_cache_mla_kernelI14__hip_bfloat16hLNS_18Fp8KVCacheDataTypeE1EEEvPKT_S5_PT0_PKliiiiiiiPKf ; -- Begin function _ZN4vllm27concat_and_cache_mla_kernelI14__hip_bfloat16hLNS_18Fp8KVCacheDataTypeE1EEEvPKT_S5_PT0_PKliiiiiiiPKf
	.globl	_ZN4vllm27concat_and_cache_mla_kernelI14__hip_bfloat16hLNS_18Fp8KVCacheDataTypeE1EEEvPKT_S5_PT0_PKliiiiiiiPKf
	.p2align	8
	.type	_ZN4vllm27concat_and_cache_mla_kernelI14__hip_bfloat16hLNS_18Fp8KVCacheDataTypeE1EEEvPKT_S5_PT0_PKliiiiiiiPKf,@function
_ZN4vllm27concat_and_cache_mla_kernelI14__hip_bfloat16hLNS_18Fp8KVCacheDataTypeE1EEEvPKT_S5_PT0_PKliiiiiiiPKf: ; @_ZN4vllm27concat_and_cache_mla_kernelI14__hip_bfloat16hLNS_18Fp8KVCacheDataTypeE1EEEvPKT_S5_PT0_PKliiiiiiiPKf
; %bb.0:
	s_load_dwordx2 s[0:1], s[4:5], 0x18
	s_mov_b32 s7, 0
	s_lshl_b64 s[2:3], s[6:7], 3
	s_waitcnt lgkmcnt(0)
	s_add_u32 s0, s0, s2
	s_addc_u32 s1, s1, s3
	s_load_dwordx2 s[22:23], s[0:1], 0x0
	s_waitcnt lgkmcnt(0)
	v_cmp_lt_i64_e64 s[0:1], s[22:23], 0
	s_and_b64 vcc, exec, s[0:1]
	s_cbranch_vccnz .LBB25_42
; %bb.1:
	s_load_dwordx8 s[8:15], s[4:5], 0x20
	s_waitcnt lgkmcnt(0)
	s_ashr_i32 s15, s14, 31
	s_or_b64 s[0:1], s[22:23], s[14:15]
	s_mov_b32 s0, s7
	s_cmp_lg_u64 s[0:1], 0
	s_cbranch_scc0 .LBB25_43
; %bb.2:
	s_add_u32 s0, s14, s15
	s_mov_b32 s2, s15
	s_mov_b32 s3, s15
	s_addc_u32 s1, s15, s15
	s_xor_b64 s[16:17], s[0:1], s[2:3]
	v_cvt_f32_u32_e32 v1, s16
	v_cvt_f32_u32_e32 v2, s17
	s_sub_u32 s0, 0, s16
	s_subb_u32 s1, 0, s17
	v_madmk_f32 v1, v2, 0x4f800000, v1
	v_rcp_f32_e32 v1, v1
	v_mul_f32_e32 v1, 0x5f7ffffc, v1
	v_mul_f32_e32 v2, 0x2f800000, v1
	v_trunc_f32_e32 v2, v2
	v_madmk_f32 v1, v2, 0xcf800000, v1
	v_cvt_u32_f32_e32 v2, v2
	v_cvt_u32_f32_e32 v1, v1
	v_readfirstlane_b32 s7, v2
	v_readfirstlane_b32 s20, v1
	s_mul_i32 s21, s0, s7
	s_mul_hi_u32 s25, s0, s20
	s_mul_i32 s24, s1, s20
	s_add_i32 s21, s25, s21
	s_add_i32 s21, s21, s24
	s_mul_i32 s26, s0, s20
	s_mul_hi_u32 s24, s20, s21
	s_mul_i32 s25, s20, s21
	s_mul_hi_u32 s20, s20, s26
	s_add_u32 s20, s20, s25
	s_addc_u32 s24, 0, s24
	s_mul_hi_u32 s27, s7, s26
	s_mul_i32 s26, s7, s26
	s_add_u32 s20, s20, s26
	s_mul_hi_u32 s25, s7, s21
	s_addc_u32 s20, s24, s27
	s_addc_u32 s24, s25, 0
	s_mul_i32 s21, s7, s21
	s_add_u32 s20, s20, s21
	s_addc_u32 s21, 0, s24
	v_add_co_u32_e32 v1, vcc, s20, v1
	s_cmp_lg_u64 vcc, 0
	s_addc_u32 s7, s7, s21
	v_readfirstlane_b32 s21, v1
	s_mul_i32 s20, s0, s7
	s_mul_hi_u32 s24, s0, s21
	s_add_i32 s20, s24, s20
	s_mul_i32 s1, s1, s21
	s_add_i32 s20, s20, s1
	s_mul_i32 s0, s0, s21
	s_mul_hi_u32 s24, s7, s0
	s_mul_i32 s25, s7, s0
	s_mul_i32 s27, s21, s20
	s_mul_hi_u32 s0, s21, s0
	s_mul_hi_u32 s26, s21, s20
	s_add_u32 s0, s0, s27
	s_addc_u32 s21, 0, s26
	s_add_u32 s0, s0, s25
	s_mul_hi_u32 s1, s7, s20
	s_addc_u32 s0, s21, s24
	s_addc_u32 s1, s1, 0
	s_mul_i32 s20, s7, s20
	s_add_u32 s0, s0, s20
	s_addc_u32 s1, 0, s1
	v_add_co_u32_e32 v1, vcc, s0, v1
	s_cmp_lg_u64 vcc, 0
	s_addc_u32 s7, s7, s1
	s_ashr_i32 s20, s23, 31
	s_add_u32 s0, s22, s20
	s_mov_b32 s21, s20
	s_addc_u32 s1, s23, s20
	s_xor_b64 s[24:25], s[0:1], s[20:21]
	v_readfirstlane_b32 s26, v1
	s_mul_i32 s1, s24, s7
	s_mul_hi_u32 s27, s24, s26
	s_mul_hi_u32 s0, s24, s7
	s_add_u32 s1, s27, s1
	s_addc_u32 s0, 0, s0
	s_mul_hi_u32 s28, s25, s26
	s_mul_i32 s26, s25, s26
	s_add_u32 s1, s1, s26
	s_mul_hi_u32 s27, s25, s7
	s_addc_u32 s0, s0, s28
	s_addc_u32 s1, s27, 0
	s_mul_i32 s7, s25, s7
	s_add_u32 s7, s0, s7
	s_addc_u32 s26, 0, s1
	s_mul_i32 s0, s16, s26
	s_mul_hi_u32 s1, s16, s7
	s_add_i32 s0, s1, s0
	s_mul_i32 s1, s17, s7
	s_add_i32 s27, s0, s1
	s_mul_i32 s1, s16, s7
	v_mov_b32_e32 v1, s1
	s_sub_i32 s0, s25, s27
	v_sub_co_u32_e32 v1, vcc, s24, v1
	s_cmp_lg_u64 vcc, 0
	s_subb_u32 s24, s0, s17
	v_subrev_co_u32_e64 v2, s[0:1], s16, v1
	s_cmp_lg_u64 s[0:1], 0
	s_subb_u32 s0, s24, 0
	s_cmp_ge_u32 s0, s17
	v_readfirstlane_b32 s24, v2
	s_cselect_b32 s1, -1, 0
	s_cmp_ge_u32 s24, s16
	s_cselect_b32 s24, -1, 0
	s_cmp_eq_u32 s0, s17
	s_cselect_b32 s0, s24, s1
	s_add_u32 s1, s7, 1
	s_addc_u32 s24, s26, 0
	s_add_u32 s28, s7, 2
	s_addc_u32 s29, s26, 0
	s_cmp_lg_u32 s0, 0
	s_cselect_b32 s0, s28, s1
	s_cselect_b32 s1, s29, s24
	s_cmp_lg_u64 vcc, 0
	s_subb_u32 s24, s25, s27
	s_cmp_ge_u32 s24, s17
	v_readfirstlane_b32 s27, v1
	s_cselect_b32 s25, -1, 0
	s_cmp_ge_u32 s27, s16
	s_cselect_b32 s16, -1, 0
	s_cmp_eq_u32 s24, s17
	s_cselect_b32 s16, s16, s25
	s_cmp_lg_u32 s16, 0
	s_cselect_b32 s1, s1, s26
	s_cselect_b32 s0, s0, s7
	s_xor_b64 s[2:3], s[20:21], s[2:3]
	s_xor_b64 s[0:1], s[0:1], s[2:3]
	s_sub_u32 s16, s0, s2
	s_subb_u32 s17, s1, s3
	s_load_dwordx2 s[2:3], s[4:5], 0x10
	s_cbranch_execnz .LBB25_4
.LBB25_3:
	v_cvt_f32_u32_e32 v1, s14
	s_sub_i32 s0, 0, s14
	s_mov_b32 s17, 0
	v_rcp_iflag_f32_e32 v1, v1
	v_mul_f32_e32 v1, 0x4f7ffffe, v1
	v_cvt_u32_f32_e32 v1, v1
	v_readfirstlane_b32 s1, v1
	s_mul_i32 s0, s0, s1
	s_mul_hi_u32 s0, s1, s0
	s_add_i32 s1, s1, s0
	s_mul_hi_u32 s0, s22, s1
	s_mul_i32 s7, s0, s14
	s_sub_i32 s7, s22, s7
	s_add_i32 s1, s0, 1
	s_sub_i32 s16, s7, s14
	s_cmp_ge_u32 s7, s14
	s_cselect_b32 s0, s1, s0
	s_cselect_b32 s7, s16, s7
	s_add_i32 s1, s0, 1
	s_cmp_ge_u32 s7, s14
	s_cselect_b32 s16, s1, s0
.LBB25_4:
	s_mul_i32 s0, s16, s15
	s_mul_hi_u32 s1, s16, s14
	s_load_dwordx2 s[18:19], s[4:5], 0x8
	s_load_dwordx2 s[20:21], s[4:5], 0x40
	s_add_i32 s0, s1, s0
	s_mul_i32 s1, s17, s14
	s_add_i32 s0, s0, s1
	s_mul_i32 s1, s16, s14
	s_sub_u32 s33, s22, s1
	s_subb_u32 s39, s23, s0
	v_cmp_gt_i32_e32 vcc, s12, v0
	s_mul_hi_u32 s40, s16, s8
	s_mul_i32 s41, s17, s8
	s_mul_i32 s17, s16, s8
	s_mul_hi_u32 s38, s33, s9
	s_mul_i32 s39, s39, s9
	s_mul_i32 s7, s33, s9
	s_and_saveexec_b64 s[14:15], vcc
	s_cbranch_execz .LBB25_23
; %bb.5:
	s_ashr_i32 s0, s10, 31
	s_mul_hi_u32 s1, s10, s6
	s_mul_i32 s0, s0, s6
	s_add_i32 s1, s1, s0
	s_mul_i32 s0, s10, s6
	s_ashr_i32 s10, s8, 31
	s_mul_i32 s10, s16, s10
	s_add_i32 s10, s40, s10
	s_load_dwordx2 s[22:23], s[4:5], 0x0
	s_load_dword s26, s[4:5], 0x54
	s_add_i32 s24, s10, s41
	s_ashr_i32 s10, s9, 31
	s_mul_i32 s10, s33, s10
	s_add_i32 s10, s38, s10
	s_add_i32 s25, s10, s39
	s_lshl_b64 s[0:1], s[0:1], 1
	s_waitcnt lgkmcnt(0)
	s_add_u32 s10, s22, s0
	s_addc_u32 s0, s23, s1
	s_load_dword s42, s[20:21], 0x0
	s_add_u32 s1, s2, s17
	s_addc_u32 s22, s3, s24
	s_add_u32 s43, s1, s7
	s_addc_u32 s44, s22, s25
	s_and_b32 s45, s26, 0xffff
	s_mov_b64 s[22:23], 0
	v_mov_b32_e32 v1, s0
	v_mov_b32_e32 v3, 0
	s_movk_i32 s46, 0x80
	s_mov_b64 s[24:25], 0x7f800000
	s_mov_b64 s[26:27], 0x43e00001
	s_movk_i32 s47, 0x7a
	s_mov_b64 s[28:29], 0xffffff
	s_movk_i32 s48, 0x7f
	v_mov_b32_e32 v8, 0xffffff82
	v_mov_b32_e32 v9, 0x78
	;; [unrolled: 1-line block ×3, first 2 shown]
	s_branch .LBB25_7
.LBB25_6:                               ;   in Loop: Header=BB25_7 Depth=1
	s_or_b64 exec, exec, s[0:1]
	v_mov_b32_e32 v2, s44
	v_add_co_u32_e32 v10, vcc, s43, v4
	v_addc_co_u32_e32 v11, vcc, v2, v5, vcc
	v_add_u32_e32 v4, s45, v4
	v_cmp_le_i32_e32 vcc, s12, v4
	s_or_b64 s[22:23], vcc, s[22:23]
	global_store_byte v[10:11], v7, off
	s_andn2_b64 exec, exec, s[22:23]
	s_cbranch_execz .LBB25_23
.LBB25_7:                               ; =>This Inner Loop Header: Depth=1
	v_ashrrev_i32_e32 v5, 31, v4
	v_lshlrev_b64 v[6:7], 1, v[4:5]
	v_add_co_u32_e32 v6, vcc, s10, v6
	v_addc_co_u32_e32 v7, vcc, v1, v7, vcc
	global_load_ushort v2, v[6:7], off
	v_mov_b32_e32 v13, v3
	s_waitcnt vmcnt(0)
	v_lshlrev_b32_e32 v2, 16, v2
	s_waitcnt lgkmcnt(0)
	v_div_scale_f32 v6, s[0:1], s42, s42, v2
	v_rcp_f32_e32 v7, v6
	v_div_scale_f32 v10, vcc, v2, s42, v2
	v_fma_f32 v11, -v6, v7, 1.0
	v_fmac_f32_e32 v7, v11, v7
	v_mul_f32_e32 v11, v10, v7
	v_fma_f32 v12, -v6, v11, v10
	v_fmac_f32_e32 v11, v12, v7
	v_fma_f32 v6, -v6, v11, v10
	v_div_fmas_f32 v6, v6, v7, v11
	v_div_fixup_f32 v6, v6, s42, v2
	v_and_b32_sdwa v10, v6, s46 dst_sel:DWORD dst_unused:UNUSED_PAD src0_sel:BYTE_3 src1_sel:DWORD
	v_and_b32_e32 v12, 0x7f800000, v6
	v_and_b32_e32 v2, 0x7fffff, v6
	v_or_b32_e32 v7, 0x7e, v10
	v_cmp_ne_u64_e32 vcc, s[24:25], v[12:13]
	s_and_saveexec_b64 s[0:1], vcc
	s_xor_b64 s[30:31], exec, s[0:1]
	s_cbranch_execz .LBB25_21
; %bb.8:                                ;   in Loop: Header=BB25_7 Depth=1
	v_and_b32_e32 v12, 0x7fffffff, v6
	v_mov_b32_e32 v13, v3
	v_cmp_gt_u64_e32 vcc, s[26:27], v[12:13]
	s_and_saveexec_b64 s[0:1], vcc
	s_xor_b64 s[34:35], exec, s[0:1]
	s_cbranch_execz .LBB25_20
; %bb.9:                                ;   in Loop: Header=BB25_7 Depth=1
	v_cmp_ne_u32_e32 vcc, 0, v6
	v_mov_b32_e32 v7, 0
	s_and_saveexec_b64 s[36:37], vcc
	s_cbranch_execz .LBB25_19
; %bb.10:                               ;   in Loop: Header=BB25_7 Depth=1
	v_bfe_u32 v6, v6, 23, 8
	v_sub_u32_e32 v11, 0x79, v6
	v_cmp_gt_u32_e32 vcc, s47, v6
	v_cndmask_b32_e32 v11, 0, v11, vcc
	v_cmp_eq_u32_e32 vcc, 0, v6
	v_cndmask_b32_e32 v11, v11, v9, vcc
	v_add_u32_e32 v7, 0xffffff81, v6
	v_or_b32_e32 v12, 0x800000, v2
	v_add_u32_e32 v6, 20, v11
	v_cndmask_b32_e32 v13, v7, v8, vcc
	v_cndmask_b32_e32 v2, v12, v2, vcc
	v_lshlrev_b64 v[6:7], v6, -1
	v_not_b32_e32 v6, v6
	v_lshrrev_b64 v[16:17], v11, v[2:3]
	v_not_b32_e32 v7, v7
	v_and_b32_e32 v6, v2, v6
	v_add_u32_e32 v12, 19, v11
	v_lshrrev_b32_e32 v2, 23, v16
	v_and_b32_e32 v7, 0, v7
	v_lshlrev_b64 v[14:15], v12, 1
	v_add3_u32 v12, v11, v13, v2
	v_bfe_u32 v2, v16, 20, 1
	v_add_u32_e32 v2, -1, v2
	v_cmp_eq_u64_e32 vcc, v[6:7], v[14:15]
	v_cndmask_b32_e32 v2, 0, v2, vcc
	v_add_u32_e32 v2, v2, v16
	v_and_b32_e32 v2, 0xfffff, v2
	v_add_co_u32_e32 v6, vcc, v2, v16
	v_add_u32_e32 v11, 6, v12
	v_addc_co_u32_e32 v7, vcc, 0, v17, vcc
	v_cmp_ne_u32_e32 vcc, 0, v11
                                        ; implicit-def: $vgpr2
	s_and_saveexec_b64 s[0:1], vcc
	s_xor_b64 s[0:1], exec, s[0:1]
; %bb.11:                               ;   in Loop: Header=BB25_7 Depth=1
	v_add_u32_e32 v2, 7, v12
	v_cmp_lt_u64_e32 vcc, s[28:29], v[6:7]
	v_cndmask_b32_e32 v2, v11, v2, vcc
	v_cndmask_b32_e64 v11, 0, 1, vcc
	v_lshrrev_b64 v[6:7], v11, v[6:7]
; %bb.12:                               ;   in Loop: Header=BB25_7 Depth=1
	s_andn2_saveexec_b64 s[0:1], s[0:1]
; %bb.13:                               ;   in Loop: Header=BB25_7 Depth=1
	v_bfe_u32 v2, v6, 23, 1
; %bb.14:                               ;   in Loop: Header=BB25_7 Depth=1
	s_or_b64 exec, exec, s[0:1]
	v_lshrrev_b64 v[6:7], 20, v[6:7]
	v_cmp_gt_i32_e32 vcc, 16, v2
	v_cndmask_b32_e32 v7, 0, v7, vcc
	v_cndmask_b32_e32 v6, 7, v6, vcc
	v_cmp_ne_u32_e32 vcc, 0, v2
	v_cmp_ne_u64_e64 s[0:1], 0, v[6:7]
	s_or_b64 s[0:1], vcc, s[0:1]
                                        ; implicit-def: $vgpr7
	s_and_saveexec_b64 s[50:51], s[0:1]
	s_xor_b64 s[0:1], exec, s[50:51]
; %bb.15:                               ;   in Loop: Header=BB25_7 Depth=1
	v_min_i32_e32 v2, 15, v2
	v_lshl_or_b32 v2, v2, 3, v10
	v_and_or_b32 v7, v6, 7, v2
                                        ; implicit-def: $vgpr10
; %bb.16:                               ;   in Loop: Header=BB25_7 Depth=1
	s_andn2_saveexec_b64 s[0:1], s[0:1]
; %bb.17:                               ;   in Loop: Header=BB25_7 Depth=1
	v_mov_b32_e32 v7, v10
; %bb.18:                               ;   in Loop: Header=BB25_7 Depth=1
	s_or_b64 exec, exec, s[0:1]
.LBB25_19:                              ;   in Loop: Header=BB25_7 Depth=1
	s_or_b64 exec, exec, s[36:37]
.LBB25_20:                              ;   in Loop: Header=BB25_7 Depth=1
	s_andn2_saveexec_b64 s[0:1], s[34:35]
	s_or_b64 exec, exec, s[0:1]
                                        ; implicit-def: $vgpr6
.LBB25_21:                              ;   in Loop: Header=BB25_7 Depth=1
	s_andn2_saveexec_b64 s[0:1], s[30:31]
	s_cbranch_execz .LBB25_6
; %bb.22:                               ;   in Loop: Header=BB25_7 Depth=1
	v_or_b32_sdwa v6, v6, s48 dst_sel:DWORD dst_unused:UNUSED_PAD src0_sel:BYTE_3 src1_sel:DWORD
	v_cmp_eq_u64_e32 vcc, 0, v[2:3]
	v_cndmask_b32_e32 v7, v6, v7, vcc
	s_branch .LBB25_6
.LBB25_23:
	s_or_b64 exec, exec, s[14:15]
	v_cmp_gt_i32_e32 vcc, s13, v0
	s_and_saveexec_b64 s[0:1], vcc
	s_cbranch_execz .LBB25_42
; %bb.24:
	s_ashr_i32 s0, s11, 31
	s_mul_hi_u32 s1, s11, s6
	s_mul_i32 s0, s0, s6
	s_add_i32 s1, s1, s0
	s_mul_i32 s0, s11, s6
	s_ashr_i32 s6, s8, 31
	s_ashr_i32 s8, s9, 31
	s_mul_i32 s6, s16, s6
	s_mul_i32 s33, s33, s8
	s_add_i32 s6, s40, s6
	s_add_i32 s8, s38, s33
	;; [unrolled: 1-line block ×4, first 2 shown]
	s_ashr_i32 s9, s12, 31
	s_lshl_b64 s[0:1], s[0:1], 1
	s_waitcnt lgkmcnt(0)
	s_add_u32 s18, s18, s0
	s_addc_u32 s0, s19, s1
	s_add_u32 s1, s2, s17
	s_addc_u32 s2, s3, s6
	s_load_dword s3, s[4:5], 0x54
	s_load_dword s19, s[20:21], 0x0
	s_add_u32 s1, s1, s7
	s_addc_u32 s2, s2, s8
	s_add_u32 s12, s1, s12
	s_addc_u32 s20, s2, s9
	s_waitcnt lgkmcnt(0)
	s_and_b32 s21, s3, 0xffff
	s_mov_b64 s[2:3], 0
	v_mov_b32_e32 v6, s0
	v_mov_b32_e32 v3, 0
	s_movk_i32 s22, 0x80
	s_mov_b64 s[4:5], 0x7f800000
	s_mov_b64 s[6:7], 0x43e00001
	s_movk_i32 s23, 0x7a
	s_mov_b64 s[8:9], 0xffffff
	s_movk_i32 s24, 0x7f
	v_mov_b32_e32 v7, 0xffffff82
	v_mov_b32_e32 v8, 0x78
	s_branch .LBB25_26
.LBB25_25:                              ;   in Loop: Header=BB25_26 Depth=1
	s_or_b64 exec, exec, s[0:1]
	v_mov_b32_e32 v2, s20
	v_add_co_u32_e32 v10, vcc, s12, v0
	v_addc_co_u32_e32 v11, vcc, v2, v1, vcc
	v_add_u32_e32 v0, s21, v0
	v_cmp_le_i32_e32 vcc, s13, v0
	s_or_b64 s[2:3], vcc, s[2:3]
	global_store_byte v[10:11], v5, off
	s_andn2_b64 exec, exec, s[2:3]
	s_cbranch_execz .LBB25_42
.LBB25_26:                              ; =>This Inner Loop Header: Depth=1
	v_ashrrev_i32_e32 v1, 31, v0
	v_lshlrev_b64 v[4:5], 1, v[0:1]
	v_add_co_u32_e32 v4, vcc, s18, v4
	v_addc_co_u32_e32 v5, vcc, v6, v5, vcc
	global_load_ushort v2, v[4:5], off
	v_mov_b32_e32 v11, v3
	s_waitcnt vmcnt(0)
	v_lshlrev_b32_e32 v2, 16, v2
	v_div_scale_f32 v4, s[0:1], s19, s19, v2
	v_rcp_f32_e32 v5, v4
	v_div_scale_f32 v9, vcc, v2, s19, v2
	v_fma_f32 v10, -v4, v5, 1.0
	v_fmac_f32_e32 v5, v10, v5
	v_mul_f32_e32 v10, v9, v5
	v_fma_f32 v12, -v4, v10, v9
	v_fmac_f32_e32 v10, v12, v5
	v_fma_f32 v4, -v4, v10, v9
	v_div_fmas_f32 v4, v4, v5, v10
	v_div_fixup_f32 v4, v4, s19, v2
	v_and_b32_sdwa v9, v4, s22 dst_sel:DWORD dst_unused:UNUSED_PAD src0_sel:BYTE_3 src1_sel:DWORD
	v_and_b32_e32 v10, 0x7f800000, v4
	v_and_b32_e32 v2, 0x7fffff, v4
	v_or_b32_e32 v5, 0x7e, v9
	v_cmp_ne_u64_e32 vcc, s[4:5], v[10:11]
	s_and_saveexec_b64 s[0:1], vcc
	s_xor_b64 s[10:11], exec, s[0:1]
	s_cbranch_execz .LBB25_40
; %bb.27:                               ;   in Loop: Header=BB25_26 Depth=1
	v_and_b32_e32 v10, 0x7fffffff, v4
	v_mov_b32_e32 v11, v3
	v_cmp_gt_u64_e32 vcc, s[6:7], v[10:11]
	s_and_saveexec_b64 s[0:1], vcc
	s_xor_b64 s[14:15], exec, s[0:1]
	s_cbranch_execz .LBB25_39
; %bb.28:                               ;   in Loop: Header=BB25_26 Depth=1
	v_cmp_ne_u32_e32 vcc, 0, v4
	v_mov_b32_e32 v5, 0
	s_and_saveexec_b64 s[16:17], vcc
	s_cbranch_execz .LBB25_38
; %bb.29:                               ;   in Loop: Header=BB25_26 Depth=1
	v_bfe_u32 v4, v4, 23, 8
	v_sub_u32_e32 v10, 0x79, v4
	v_cmp_gt_u32_e32 vcc, s23, v4
	v_cndmask_b32_e32 v10, 0, v10, vcc
	v_cmp_eq_u32_e32 vcc, 0, v4
	v_cndmask_b32_e32 v10, v10, v8, vcc
	v_add_u32_e32 v5, 0xffffff81, v4
	v_or_b32_e32 v11, 0x800000, v2
	v_add_u32_e32 v4, 20, v10
	v_cndmask_b32_e32 v16, v5, v7, vcc
	v_cndmask_b32_e32 v2, v11, v2, vcc
	v_lshlrev_b64 v[4:5], v4, -1
	v_not_b32_e32 v4, v4
	v_lshrrev_b64 v[14:15], v10, v[2:3]
	v_not_b32_e32 v5, v5
	v_and_b32_e32 v4, v2, v4
	v_add_u32_e32 v11, 19, v10
	v_lshrrev_b32_e32 v2, 23, v14
	v_and_b32_e32 v5, 0, v5
	v_lshlrev_b64 v[12:13], v11, 1
	v_add3_u32 v11, v10, v16, v2
	v_bfe_u32 v2, v14, 20, 1
	v_add_u32_e32 v2, -1, v2
	v_cmp_eq_u64_e32 vcc, v[4:5], v[12:13]
	v_cndmask_b32_e32 v2, 0, v2, vcc
	v_add_u32_e32 v2, v2, v14
	v_and_b32_e32 v2, 0xfffff, v2
	v_add_co_u32_e32 v4, vcc, v2, v14
	v_add_u32_e32 v10, 6, v11
	v_addc_co_u32_e32 v5, vcc, 0, v15, vcc
	v_cmp_ne_u32_e32 vcc, 0, v10
                                        ; implicit-def: $vgpr2
	s_and_saveexec_b64 s[0:1], vcc
	s_xor_b64 s[0:1], exec, s[0:1]
; %bb.30:                               ;   in Loop: Header=BB25_26 Depth=1
	v_add_u32_e32 v2, 7, v11
	v_cmp_lt_u64_e32 vcc, s[8:9], v[4:5]
	v_cndmask_b32_e32 v2, v10, v2, vcc
	v_cndmask_b32_e64 v10, 0, 1, vcc
	v_lshrrev_b64 v[4:5], v10, v[4:5]
; %bb.31:                               ;   in Loop: Header=BB25_26 Depth=1
	s_andn2_saveexec_b64 s[0:1], s[0:1]
; %bb.32:                               ;   in Loop: Header=BB25_26 Depth=1
	v_bfe_u32 v2, v4, 23, 1
; %bb.33:                               ;   in Loop: Header=BB25_26 Depth=1
	s_or_b64 exec, exec, s[0:1]
	v_lshrrev_b64 v[4:5], 20, v[4:5]
	v_cmp_gt_i32_e32 vcc, 16, v2
	v_cndmask_b32_e32 v5, 0, v5, vcc
	v_cndmask_b32_e32 v4, 7, v4, vcc
	v_cmp_ne_u32_e32 vcc, 0, v2
	v_cmp_ne_u64_e64 s[0:1], 0, v[4:5]
	s_or_b64 s[0:1], vcc, s[0:1]
                                        ; implicit-def: $vgpr5
	s_and_saveexec_b64 s[26:27], s[0:1]
	s_xor_b64 s[0:1], exec, s[26:27]
; %bb.34:                               ;   in Loop: Header=BB25_26 Depth=1
	v_min_i32_e32 v2, 15, v2
	v_lshl_or_b32 v2, v2, 3, v9
	v_and_or_b32 v5, v4, 7, v2
                                        ; implicit-def: $vgpr9
; %bb.35:                               ;   in Loop: Header=BB25_26 Depth=1
	s_andn2_saveexec_b64 s[0:1], s[0:1]
; %bb.36:                               ;   in Loop: Header=BB25_26 Depth=1
	v_mov_b32_e32 v5, v9
; %bb.37:                               ;   in Loop: Header=BB25_26 Depth=1
	s_or_b64 exec, exec, s[0:1]
.LBB25_38:                              ;   in Loop: Header=BB25_26 Depth=1
	s_or_b64 exec, exec, s[16:17]
.LBB25_39:                              ;   in Loop: Header=BB25_26 Depth=1
	s_andn2_saveexec_b64 s[0:1], s[14:15]
	s_or_b64 exec, exec, s[0:1]
                                        ; implicit-def: $vgpr4
.LBB25_40:                              ;   in Loop: Header=BB25_26 Depth=1
	s_andn2_saveexec_b64 s[0:1], s[10:11]
	s_cbranch_execz .LBB25_25
; %bb.41:                               ;   in Loop: Header=BB25_26 Depth=1
	v_or_b32_sdwa v4, v4, s24 dst_sel:DWORD dst_unused:UNUSED_PAD src0_sel:BYTE_3 src1_sel:DWORD
	v_cmp_eq_u64_e32 vcc, 0, v[2:3]
	v_cndmask_b32_e32 v5, v4, v5, vcc
	s_branch .LBB25_25
.LBB25_42:
	s_endpgm
.LBB25_43:
                                        ; implicit-def: $sgpr16_sgpr17
	s_load_dwordx2 s[2:3], s[4:5], 0x10
	s_branch .LBB25_3
	.section	.rodata,"a",@progbits
	.p2align	6, 0x0
	.amdhsa_kernel _ZN4vllm27concat_and_cache_mla_kernelI14__hip_bfloat16hLNS_18Fp8KVCacheDataTypeE1EEEvPKT_S5_PT0_PKliiiiiiiPKf
		.amdhsa_group_segment_fixed_size 0
		.amdhsa_private_segment_fixed_size 0
		.amdhsa_kernarg_size 328
		.amdhsa_user_sgpr_count 6
		.amdhsa_user_sgpr_private_segment_buffer 1
		.amdhsa_user_sgpr_dispatch_ptr 0
		.amdhsa_user_sgpr_queue_ptr 0
		.amdhsa_user_sgpr_kernarg_segment_ptr 1
		.amdhsa_user_sgpr_dispatch_id 0
		.amdhsa_user_sgpr_flat_scratch_init 0
		.amdhsa_user_sgpr_kernarg_preload_length 0
		.amdhsa_user_sgpr_kernarg_preload_offset 0
		.amdhsa_user_sgpr_private_segment_size 0
		.amdhsa_uses_dynamic_stack 0
		.amdhsa_system_sgpr_private_segment_wavefront_offset 0
		.amdhsa_system_sgpr_workgroup_id_x 1
		.amdhsa_system_sgpr_workgroup_id_y 0
		.amdhsa_system_sgpr_workgroup_id_z 0
		.amdhsa_system_sgpr_workgroup_info 0
		.amdhsa_system_vgpr_workitem_id 0
		.amdhsa_next_free_vgpr 18
		.amdhsa_next_free_sgpr 52
		.amdhsa_accum_offset 20
		.amdhsa_reserve_vcc 1
		.amdhsa_reserve_flat_scratch 0
		.amdhsa_float_round_mode_32 0
		.amdhsa_float_round_mode_16_64 0
		.amdhsa_float_denorm_mode_32 3
		.amdhsa_float_denorm_mode_16_64 3
		.amdhsa_dx10_clamp 1
		.amdhsa_ieee_mode 1
		.amdhsa_fp16_overflow 0
		.amdhsa_tg_split 0
		.amdhsa_exception_fp_ieee_invalid_op 0
		.amdhsa_exception_fp_denorm_src 0
		.amdhsa_exception_fp_ieee_div_zero 0
		.amdhsa_exception_fp_ieee_overflow 0
		.amdhsa_exception_fp_ieee_underflow 0
		.amdhsa_exception_fp_ieee_inexact 0
		.amdhsa_exception_int_div_zero 0
	.end_amdhsa_kernel
	.section	.text._ZN4vllm27concat_and_cache_mla_kernelI14__hip_bfloat16hLNS_18Fp8KVCacheDataTypeE1EEEvPKT_S5_PT0_PKliiiiiiiPKf,"axG",@progbits,_ZN4vllm27concat_and_cache_mla_kernelI14__hip_bfloat16hLNS_18Fp8KVCacheDataTypeE1EEEvPKT_S5_PT0_PKliiiiiiiPKf,comdat
.Lfunc_end25:
	.size	_ZN4vllm27concat_and_cache_mla_kernelI14__hip_bfloat16hLNS_18Fp8KVCacheDataTypeE1EEEvPKT_S5_PT0_PKliiiiiiiPKf, .Lfunc_end25-_ZN4vllm27concat_and_cache_mla_kernelI14__hip_bfloat16hLNS_18Fp8KVCacheDataTypeE1EEEvPKT_S5_PT0_PKliiiiiiiPKf
                                        ; -- End function
	.section	.AMDGPU.csdata,"",@progbits
; Kernel info:
; codeLenInByte = 2396
; NumSgprs: 56
; NumVgprs: 18
; NumAgprs: 0
; TotalNumVgprs: 18
; ScratchSize: 0
; MemoryBound: 0
; FloatMode: 240
; IeeeMode: 1
; LDSByteSize: 0 bytes/workgroup (compile time only)
; SGPRBlocks: 6
; VGPRBlocks: 2
; NumSGPRsForWavesPerEU: 56
; NumVGPRsForWavesPerEU: 18
; AccumOffset: 20
; Occupancy: 8
; WaveLimiterHint : 0
; COMPUTE_PGM_RSRC2:SCRATCH_EN: 0
; COMPUTE_PGM_RSRC2:USER_SGPR: 6
; COMPUTE_PGM_RSRC2:TRAP_HANDLER: 0
; COMPUTE_PGM_RSRC2:TGID_X_EN: 1
; COMPUTE_PGM_RSRC2:TGID_Y_EN: 0
; COMPUTE_PGM_RSRC2:TGID_Z_EN: 0
; COMPUTE_PGM_RSRC2:TIDIG_COMP_CNT: 0
; COMPUTE_PGM_RSRC3_GFX90A:ACCUM_OFFSET: 4
; COMPUTE_PGM_RSRC3_GFX90A:TG_SPLIT: 0
	.text
	.p2align	2                               ; -- Begin function __ockl_fprintf_append_string_n
	.type	__ockl_fprintf_append_string_n,@function
__ockl_fprintf_append_string_n:         ; @__ockl_fprintf_append_string_n
; %bb.0:
	s_waitcnt vmcnt(0) expcnt(0) lgkmcnt(0)
	v_mov_b32_e32 v9, v3
	v_mov_b32_e32 v8, v2
	v_or_b32_e32 v2, 2, v0
	v_cmp_eq_u32_e32 vcc, 0, v6
	s_mov_b32 s22, 0
	v_cndmask_b32_e32 v0, v2, v0, vcc
	s_mov_b64 s[6:7], 0
	v_cmp_ne_u64_e32 vcc, 0, v[8:9]
	v_mbcnt_lo_u32_b32 v2, -1, 0
	s_and_saveexec_b64 s[4:5], vcc
	s_xor_b64 s[10:11], exec, s[4:5]
	s_cbranch_execz .LBB26_86
; %bb.1:
	s_load_dwordx2 s[12:13], s[8:9], 0x50
	v_and_b32_e32 v6, 2, v0
	v_mov_b32_e32 v31, 0
	v_and_b32_e32 v0, -3, v0
	v_mbcnt_hi_u32_b32 v32, -1, v2
	s_movk_i32 s23, 0xff1f
	v_mov_b32_e32 v12, 2
	v_mov_b32_e32 v13, 1
	s_branch .LBB26_3
.LBB26_2:                               ;   in Loop: Header=BB26_3 Depth=1
	s_or_b64 exec, exec, s[16:17]
	v_sub_co_u32_e32 v4, vcc, v4, v34
	v_subb_co_u32_e32 v5, vcc, v5, v35, vcc
	v_cmp_eq_u64_e32 vcc, 0, v[4:5]
	s_or_b64 s[6:7], vcc, s[6:7]
	v_add_co_u32_e32 v8, vcc, v8, v34
	v_addc_co_u32_e32 v9, vcc, v9, v35, vcc
	s_andn2_b64 exec, exec, s[6:7]
	s_cbranch_execz .LBB26_85
.LBB26_3:                               ; =>This Loop Header: Depth=1
                                        ;     Child Loop BB26_6 Depth 2
                                        ;     Child Loop BB26_14 Depth 2
	;; [unrolled: 1-line block ×11, first 2 shown]
	v_cmp_gt_u64_e32 vcc, 56, v[4:5]
	v_cndmask_b32_e32 v35, 0, v5, vcc
	v_cndmask_b32_e32 v34, 56, v4, vcc
	v_cmp_gt_u64_e32 vcc, 8, v[4:5]
                                        ; implicit-def: $vgpr2_vgpr3
                                        ; implicit-def: $sgpr14
	s_and_saveexec_b64 s[4:5], vcc
	s_xor_b64 s[4:5], exec, s[4:5]
	s_cbranch_execz .LBB26_9
; %bb.4:                                ;   in Loop: Header=BB26_3 Depth=1
	s_mov_b64 s[16:17], 0
	v_cmp_ne_u64_e32 vcc, 0, v[4:5]
	s_waitcnt vmcnt(0)
	v_pk_mov_b32 v[2:3], 0, 0
	s_and_saveexec_b64 s[14:15], vcc
	s_cbranch_execz .LBB26_8
; %bb.5:                                ;   in Loop: Header=BB26_3 Depth=1
	v_lshlrev_b64 v[10:11], 3, v[34:35]
	v_pk_mov_b32 v[2:3], 0, 0
	v_pk_mov_b32 v[14:15], v[8:9], v[8:9] op_sel:[0,1]
	s_mov_b64 s[18:19], 0
.LBB26_6:                               ;   Parent Loop BB26_3 Depth=1
                                        ; =>  This Inner Loop Header: Depth=2
	flat_load_ubyte v7, v[14:15]
	v_mov_b32_e32 v17, s22
	v_add_co_u32_e32 v14, vcc, 1, v14
	v_addc_co_u32_e32 v15, vcc, 0, v15, vcc
	s_waitcnt vmcnt(0) lgkmcnt(0)
	v_and_b32_e32 v16, 0xffff, v7
	v_lshlrev_b64 v[16:17], s18, v[16:17]
	s_add_u32 s18, s18, 8
	s_addc_u32 s19, s19, 0
	v_cmp_eq_u32_e32 vcc, s18, v10
	v_or_b32_e32 v3, v17, v3
	s_or_b64 s[16:17], vcc, s[16:17]
	v_or_b32_e32 v2, v16, v2
	s_andn2_b64 exec, exec, s[16:17]
	s_cbranch_execnz .LBB26_6
; %bb.7:                                ;   in Loop: Header=BB26_3 Depth=1
	s_or_b64 exec, exec, s[16:17]
.LBB26_8:                               ;   in Loop: Header=BB26_3 Depth=1
	s_or_b64 exec, exec, s[14:15]
	s_mov_b32 s14, 0
.LBB26_9:                               ;   in Loop: Header=BB26_3 Depth=1
	s_or_saveexec_b64 s[4:5], s[4:5]
	v_mov_b32_e32 v7, s14
	v_pk_mov_b32 v[10:11], v[8:9], v[8:9] op_sel:[0,1]
	s_xor_b64 exec, exec, s[4:5]
	s_cbranch_execz .LBB26_11
; %bb.10:                               ;   in Loop: Header=BB26_3 Depth=1
	s_waitcnt vmcnt(0)
	flat_load_dwordx2 v[2:3], v[8:9]
	v_add_u32_e32 v7, -8, v34
	s_waitcnt vmcnt(0) lgkmcnt(0)
	v_and_b32_e32 v10, 0xff, v3
	v_and_b32_e32 v11, 0xff00, v3
	;; [unrolled: 1-line block ×4, first 2 shown]
	v_or_b32_e32 v10, v10, v11
	v_or3_b32 v3, v10, v14, v3
	v_add_co_u32_e32 v10, vcc, 8, v8
	v_or3_b32 v2, v2, 0, 0
	v_addc_co_u32_e32 v11, vcc, 0, v9, vcc
.LBB26_11:                              ;   in Loop: Header=BB26_3 Depth=1
	s_or_b64 exec, exec, s[4:5]
	v_cmp_gt_u32_e32 vcc, 8, v7
                                        ; implicit-def: $vgpr14_vgpr15
                                        ; implicit-def: $sgpr14
	s_and_saveexec_b64 s[4:5], vcc
	s_xor_b64 s[4:5], exec, s[4:5]
	s_cbranch_execz .LBB26_17
; %bb.12:                               ;   in Loop: Header=BB26_3 Depth=1
	v_cmp_ne_u32_e32 vcc, 0, v7
	v_pk_mov_b32 v[14:15], 0, 0
	s_and_saveexec_b64 s[14:15], vcc
	s_cbranch_execz .LBB26_16
; %bb.13:                               ;   in Loop: Header=BB26_3 Depth=1
	s_mov_b64 s[16:17], 0
	v_pk_mov_b32 v[14:15], 0, 0
	s_mov_b64 s[18:19], 0
	s_mov_b64 s[20:21], 0
.LBB26_14:                              ;   Parent Loop BB26_3 Depth=1
                                        ; =>  This Inner Loop Header: Depth=2
	v_mov_b32_e32 v17, s21
	v_add_co_u32_e32 v16, vcc, s20, v10
	v_addc_co_u32_e32 v17, vcc, v11, v17, vcc
	flat_load_ubyte v16, v[16:17]
	s_add_u32 s20, s20, 1
	v_mov_b32_e32 v17, s22
	s_addc_u32 s21, s21, 0
	v_cmp_eq_u32_e32 vcc, s20, v7
	s_waitcnt vmcnt(0) lgkmcnt(0)
	v_and_b32_e32 v16, 0xffff, v16
	v_lshlrev_b64 v[16:17], s18, v[16:17]
	s_add_u32 s18, s18, 8
	s_addc_u32 s19, s19, 0
	v_or_b32_e32 v15, v17, v15
	s_or_b64 s[16:17], vcc, s[16:17]
	v_or_b32_e32 v14, v16, v14
	s_andn2_b64 exec, exec, s[16:17]
	s_cbranch_execnz .LBB26_14
; %bb.15:                               ;   in Loop: Header=BB26_3 Depth=1
	s_or_b64 exec, exec, s[16:17]
.LBB26_16:                              ;   in Loop: Header=BB26_3 Depth=1
	s_or_b64 exec, exec, s[14:15]
	s_mov_b32 s14, 0
                                        ; implicit-def: $vgpr7
.LBB26_17:                              ;   in Loop: Header=BB26_3 Depth=1
	s_or_saveexec_b64 s[4:5], s[4:5]
	v_mov_b32_e32 v18, s14
	s_xor_b64 exec, exec, s[4:5]
	s_cbranch_execz .LBB26_19
; %bb.18:                               ;   in Loop: Header=BB26_3 Depth=1
	flat_load_dwordx2 v[14:15], v[10:11]
	v_add_u32_e32 v18, -8, v7
	v_add_co_u32_e32 v10, vcc, 8, v10
	v_addc_co_u32_e32 v11, vcc, 0, v11, vcc
	s_waitcnt vmcnt(0) lgkmcnt(0)
	v_and_b32_e32 v7, 0xff, v15
	v_and_b32_e32 v16, 0xff00, v15
	;; [unrolled: 1-line block ×4, first 2 shown]
	v_or_b32_e32 v7, v7, v16
	v_or3_b32 v14, v14, 0, 0
	v_or3_b32 v15, v7, v17, v15
.LBB26_19:                              ;   in Loop: Header=BB26_3 Depth=1
	s_or_b64 exec, exec, s[4:5]
	v_cmp_gt_u32_e32 vcc, 8, v18
                                        ; implicit-def: $sgpr14
	s_and_saveexec_b64 s[4:5], vcc
	s_xor_b64 s[4:5], exec, s[4:5]
	s_cbranch_execz .LBB26_25
; %bb.20:                               ;   in Loop: Header=BB26_3 Depth=1
	v_cmp_ne_u32_e32 vcc, 0, v18
	v_pk_mov_b32 v[16:17], 0, 0
	s_and_saveexec_b64 s[14:15], vcc
	s_cbranch_execz .LBB26_24
; %bb.21:                               ;   in Loop: Header=BB26_3 Depth=1
	s_mov_b64 s[16:17], 0
	v_pk_mov_b32 v[16:17], 0, 0
	s_mov_b64 s[18:19], 0
	s_mov_b64 s[20:21], 0
.LBB26_22:                              ;   Parent Loop BB26_3 Depth=1
                                        ; =>  This Inner Loop Header: Depth=2
	v_mov_b32_e32 v7, s21
	v_add_co_u32_e32 v20, vcc, s20, v10
	v_addc_co_u32_e32 v21, vcc, v11, v7, vcc
	flat_load_ubyte v7, v[20:21]
	s_add_u32 s20, s20, 1
	v_mov_b32_e32 v21, s22
	s_addc_u32 s21, s21, 0
	v_cmp_eq_u32_e32 vcc, s20, v18
	s_waitcnt vmcnt(0) lgkmcnt(0)
	v_and_b32_e32 v20, 0xffff, v7
	v_lshlrev_b64 v[20:21], s18, v[20:21]
	s_add_u32 s18, s18, 8
	s_addc_u32 s19, s19, 0
	v_or_b32_e32 v17, v21, v17
	s_or_b64 s[16:17], vcc, s[16:17]
	v_or_b32_e32 v16, v20, v16
	s_andn2_b64 exec, exec, s[16:17]
	s_cbranch_execnz .LBB26_22
; %bb.23:                               ;   in Loop: Header=BB26_3 Depth=1
	s_or_b64 exec, exec, s[16:17]
.LBB26_24:                              ;   in Loop: Header=BB26_3 Depth=1
	s_or_b64 exec, exec, s[14:15]
	s_mov_b32 s14, 0
                                        ; implicit-def: $vgpr18
.LBB26_25:                              ;   in Loop: Header=BB26_3 Depth=1
	s_or_saveexec_b64 s[4:5], s[4:5]
	v_mov_b32_e32 v7, s14
	s_xor_b64 exec, exec, s[4:5]
	s_cbranch_execz .LBB26_27
; %bb.26:                               ;   in Loop: Header=BB26_3 Depth=1
	flat_load_dwordx2 v[16:17], v[10:11]
	v_add_u32_e32 v7, -8, v18
	v_add_co_u32_e32 v10, vcc, 8, v10
	v_addc_co_u32_e32 v11, vcc, 0, v11, vcc
	s_waitcnt vmcnt(0) lgkmcnt(0)
	v_and_b32_e32 v18, 0xff, v17
	v_and_b32_e32 v19, 0xff00, v17
	;; [unrolled: 1-line block ×4, first 2 shown]
	v_or_b32_e32 v18, v18, v19
	v_or3_b32 v16, v16, 0, 0
	v_or3_b32 v17, v18, v20, v17
.LBB26_27:                              ;   in Loop: Header=BB26_3 Depth=1
	s_or_b64 exec, exec, s[4:5]
	v_cmp_gt_u32_e32 vcc, 8, v7
                                        ; implicit-def: $vgpr18_vgpr19
                                        ; implicit-def: $sgpr14
	s_and_saveexec_b64 s[4:5], vcc
	s_xor_b64 s[4:5], exec, s[4:5]
	s_cbranch_execz .LBB26_33
; %bb.28:                               ;   in Loop: Header=BB26_3 Depth=1
	v_cmp_ne_u32_e32 vcc, 0, v7
	v_pk_mov_b32 v[18:19], 0, 0
	s_and_saveexec_b64 s[14:15], vcc
	s_cbranch_execz .LBB26_32
; %bb.29:                               ;   in Loop: Header=BB26_3 Depth=1
	s_mov_b64 s[16:17], 0
	v_pk_mov_b32 v[18:19], 0, 0
	s_mov_b64 s[18:19], 0
	s_mov_b64 s[20:21], 0
.LBB26_30:                              ;   Parent Loop BB26_3 Depth=1
                                        ; =>  This Inner Loop Header: Depth=2
	v_mov_b32_e32 v21, s21
	v_add_co_u32_e32 v20, vcc, s20, v10
	v_addc_co_u32_e32 v21, vcc, v11, v21, vcc
	flat_load_ubyte v20, v[20:21]
	s_add_u32 s20, s20, 1
	v_mov_b32_e32 v21, s22
	s_addc_u32 s21, s21, 0
	v_cmp_eq_u32_e32 vcc, s20, v7
	s_waitcnt vmcnt(0) lgkmcnt(0)
	v_and_b32_e32 v20, 0xffff, v20
	v_lshlrev_b64 v[20:21], s18, v[20:21]
	s_add_u32 s18, s18, 8
	s_addc_u32 s19, s19, 0
	v_or_b32_e32 v19, v21, v19
	s_or_b64 s[16:17], vcc, s[16:17]
	v_or_b32_e32 v18, v20, v18
	s_andn2_b64 exec, exec, s[16:17]
	s_cbranch_execnz .LBB26_30
; %bb.31:                               ;   in Loop: Header=BB26_3 Depth=1
	s_or_b64 exec, exec, s[16:17]
.LBB26_32:                              ;   in Loop: Header=BB26_3 Depth=1
	s_or_b64 exec, exec, s[14:15]
	s_mov_b32 s14, 0
                                        ; implicit-def: $vgpr7
.LBB26_33:                              ;   in Loop: Header=BB26_3 Depth=1
	s_or_saveexec_b64 s[4:5], s[4:5]
	v_mov_b32_e32 v22, s14
	s_xor_b64 exec, exec, s[4:5]
	s_cbranch_execz .LBB26_35
; %bb.34:                               ;   in Loop: Header=BB26_3 Depth=1
	flat_load_dwordx2 v[18:19], v[10:11]
	v_add_u32_e32 v22, -8, v7
	v_add_co_u32_e32 v10, vcc, 8, v10
	v_addc_co_u32_e32 v11, vcc, 0, v11, vcc
	s_waitcnt vmcnt(0) lgkmcnt(0)
	v_and_b32_e32 v7, 0xff, v19
	v_and_b32_e32 v20, 0xff00, v19
	;; [unrolled: 1-line block ×4, first 2 shown]
	v_or_b32_e32 v7, v7, v20
	v_or3_b32 v18, v18, 0, 0
	v_or3_b32 v19, v7, v21, v19
.LBB26_35:                              ;   in Loop: Header=BB26_3 Depth=1
	s_or_b64 exec, exec, s[4:5]
	v_cmp_gt_u32_e32 vcc, 8, v22
                                        ; implicit-def: $sgpr14
	s_and_saveexec_b64 s[4:5], vcc
	s_xor_b64 s[4:5], exec, s[4:5]
	s_cbranch_execz .LBB26_41
; %bb.36:                               ;   in Loop: Header=BB26_3 Depth=1
	v_cmp_ne_u32_e32 vcc, 0, v22
	v_pk_mov_b32 v[20:21], 0, 0
	s_and_saveexec_b64 s[14:15], vcc
	s_cbranch_execz .LBB26_40
; %bb.37:                               ;   in Loop: Header=BB26_3 Depth=1
	s_mov_b64 s[16:17], 0
	v_pk_mov_b32 v[20:21], 0, 0
	s_mov_b64 s[18:19], 0
	s_mov_b64 s[20:21], 0
.LBB26_38:                              ;   Parent Loop BB26_3 Depth=1
                                        ; =>  This Inner Loop Header: Depth=2
	v_mov_b32_e32 v7, s21
	v_add_co_u32_e32 v24, vcc, s20, v10
	v_addc_co_u32_e32 v25, vcc, v11, v7, vcc
	flat_load_ubyte v7, v[24:25]
	s_add_u32 s20, s20, 1
	v_mov_b32_e32 v25, s22
	s_addc_u32 s21, s21, 0
	v_cmp_eq_u32_e32 vcc, s20, v22
	s_waitcnt vmcnt(0) lgkmcnt(0)
	v_and_b32_e32 v24, 0xffff, v7
	v_lshlrev_b64 v[24:25], s18, v[24:25]
	s_add_u32 s18, s18, 8
	s_addc_u32 s19, s19, 0
	v_or_b32_e32 v21, v25, v21
	s_or_b64 s[16:17], vcc, s[16:17]
	v_or_b32_e32 v20, v24, v20
	s_andn2_b64 exec, exec, s[16:17]
	s_cbranch_execnz .LBB26_38
; %bb.39:                               ;   in Loop: Header=BB26_3 Depth=1
	s_or_b64 exec, exec, s[16:17]
.LBB26_40:                              ;   in Loop: Header=BB26_3 Depth=1
	s_or_b64 exec, exec, s[14:15]
	s_mov_b32 s14, 0
                                        ; implicit-def: $vgpr22
.LBB26_41:                              ;   in Loop: Header=BB26_3 Depth=1
	s_or_saveexec_b64 s[4:5], s[4:5]
	v_mov_b32_e32 v7, s14
	s_xor_b64 exec, exec, s[4:5]
	s_cbranch_execz .LBB26_43
; %bb.42:                               ;   in Loop: Header=BB26_3 Depth=1
	flat_load_dwordx2 v[20:21], v[10:11]
	v_add_u32_e32 v7, -8, v22
	v_add_co_u32_e32 v10, vcc, 8, v10
	v_addc_co_u32_e32 v11, vcc, 0, v11, vcc
	s_waitcnt vmcnt(0) lgkmcnt(0)
	v_and_b32_e32 v22, 0xff, v21
	v_and_b32_e32 v23, 0xff00, v21
	;; [unrolled: 1-line block ×4, first 2 shown]
	v_or_b32_e32 v22, v22, v23
	v_or3_b32 v20, v20, 0, 0
	v_or3_b32 v21, v22, v24, v21
.LBB26_43:                              ;   in Loop: Header=BB26_3 Depth=1
	s_or_b64 exec, exec, s[4:5]
	v_cmp_gt_u32_e32 vcc, 8, v7
                                        ; implicit-def: $vgpr22_vgpr23
                                        ; implicit-def: $sgpr14
	s_and_saveexec_b64 s[4:5], vcc
	s_xor_b64 s[4:5], exec, s[4:5]
	s_cbranch_execz .LBB26_49
; %bb.44:                               ;   in Loop: Header=BB26_3 Depth=1
	v_cmp_ne_u32_e32 vcc, 0, v7
	v_pk_mov_b32 v[22:23], 0, 0
	s_and_saveexec_b64 s[14:15], vcc
	s_cbranch_execz .LBB26_48
; %bb.45:                               ;   in Loop: Header=BB26_3 Depth=1
	s_mov_b64 s[16:17], 0
	v_pk_mov_b32 v[22:23], 0, 0
	s_mov_b64 s[18:19], 0
	s_mov_b64 s[20:21], 0
.LBB26_46:                              ;   Parent Loop BB26_3 Depth=1
                                        ; =>  This Inner Loop Header: Depth=2
	v_mov_b32_e32 v25, s21
	v_add_co_u32_e32 v24, vcc, s20, v10
	v_addc_co_u32_e32 v25, vcc, v11, v25, vcc
	flat_load_ubyte v24, v[24:25]
	s_add_u32 s20, s20, 1
	v_mov_b32_e32 v25, s22
	s_addc_u32 s21, s21, 0
	v_cmp_eq_u32_e32 vcc, s20, v7
	s_waitcnt vmcnt(0) lgkmcnt(0)
	v_and_b32_e32 v24, 0xffff, v24
	v_lshlrev_b64 v[24:25], s18, v[24:25]
	s_add_u32 s18, s18, 8
	s_addc_u32 s19, s19, 0
	v_or_b32_e32 v23, v25, v23
	s_or_b64 s[16:17], vcc, s[16:17]
	v_or_b32_e32 v22, v24, v22
	s_andn2_b64 exec, exec, s[16:17]
	s_cbranch_execnz .LBB26_46
; %bb.47:                               ;   in Loop: Header=BB26_3 Depth=1
	s_or_b64 exec, exec, s[16:17]
.LBB26_48:                              ;   in Loop: Header=BB26_3 Depth=1
	s_or_b64 exec, exec, s[14:15]
	s_mov_b32 s14, 0
                                        ; implicit-def: $vgpr7
.LBB26_49:                              ;   in Loop: Header=BB26_3 Depth=1
	s_or_saveexec_b64 s[4:5], s[4:5]
	v_mov_b32_e32 v26, s14
	s_xor_b64 exec, exec, s[4:5]
	s_cbranch_execz .LBB26_51
; %bb.50:                               ;   in Loop: Header=BB26_3 Depth=1
	flat_load_dwordx2 v[22:23], v[10:11]
	v_add_u32_e32 v26, -8, v7
	v_add_co_u32_e32 v10, vcc, 8, v10
	v_addc_co_u32_e32 v11, vcc, 0, v11, vcc
	s_waitcnt vmcnt(0) lgkmcnt(0)
	v_and_b32_e32 v7, 0xff, v23
	v_and_b32_e32 v24, 0xff00, v23
	;; [unrolled: 1-line block ×4, first 2 shown]
	v_or_b32_e32 v7, v7, v24
	v_or3_b32 v22, v22, 0, 0
	v_or3_b32 v23, v7, v25, v23
.LBB26_51:                              ;   in Loop: Header=BB26_3 Depth=1
	s_or_b64 exec, exec, s[4:5]
	v_cmp_gt_u32_e32 vcc, 8, v26
	s_and_saveexec_b64 s[4:5], vcc
	s_xor_b64 s[4:5], exec, s[4:5]
	s_cbranch_execz .LBB26_57
; %bb.52:                               ;   in Loop: Header=BB26_3 Depth=1
	v_cmp_ne_u32_e32 vcc, 0, v26
	v_pk_mov_b32 v[24:25], 0, 0
	s_and_saveexec_b64 s[14:15], vcc
	s_cbranch_execz .LBB26_56
; %bb.53:                               ;   in Loop: Header=BB26_3 Depth=1
	s_mov_b64 s[16:17], 0
	v_pk_mov_b32 v[24:25], 0, 0
	s_mov_b64 s[18:19], 0
.LBB26_54:                              ;   Parent Loop BB26_3 Depth=1
                                        ; =>  This Inner Loop Header: Depth=2
	flat_load_ubyte v7, v[10:11]
	v_mov_b32_e32 v29, s22
	v_add_co_u32_e32 v10, vcc, 1, v10
	v_add_u32_e32 v26, -1, v26
	v_addc_co_u32_e32 v11, vcc, 0, v11, vcc
	v_cmp_eq_u32_e32 vcc, 0, v26
	s_waitcnt vmcnt(0) lgkmcnt(0)
	v_and_b32_e32 v28, 0xffff, v7
	v_lshlrev_b64 v[28:29], s18, v[28:29]
	s_add_u32 s18, s18, 8
	s_addc_u32 s19, s19, 0
	v_or_b32_e32 v25, v29, v25
	s_or_b64 s[16:17], vcc, s[16:17]
	v_or_b32_e32 v24, v28, v24
	s_andn2_b64 exec, exec, s[16:17]
	s_cbranch_execnz .LBB26_54
; %bb.55:                               ;   in Loop: Header=BB26_3 Depth=1
	s_or_b64 exec, exec, s[16:17]
.LBB26_56:                              ;   in Loop: Header=BB26_3 Depth=1
	s_or_b64 exec, exec, s[14:15]
                                        ; implicit-def: $vgpr10_vgpr11
.LBB26_57:                              ;   in Loop: Header=BB26_3 Depth=1
	s_andn2_saveexec_b64 s[4:5], s[4:5]
	s_cbranch_execz .LBB26_59
; %bb.58:                               ;   in Loop: Header=BB26_3 Depth=1
	flat_load_dwordx2 v[10:11], v[10:11]
	s_waitcnt vmcnt(0) lgkmcnt(0)
	v_and_b32_e32 v7, 0xff, v11
	v_and_b32_e32 v24, 0xff00, v11
	;; [unrolled: 1-line block ×4, first 2 shown]
	v_or_b32_e32 v7, v7, v24
	v_or3_b32 v25, v7, v25, v11
	v_or3_b32 v24, v10, 0, 0
.LBB26_59:                              ;   in Loop: Header=BB26_3 Depth=1
	s_or_b64 exec, exec, s[4:5]
	v_readfirstlane_b32 s4, v32
	v_cmp_eq_u32_e64 s[4:5], s4, v32
	v_pk_mov_b32 v[10:11], 0, 0
	s_and_saveexec_b64 s[14:15], s[4:5]
	s_cbranch_execz .LBB26_65
; %bb.60:                               ;   in Loop: Header=BB26_3 Depth=1
	s_waitcnt lgkmcnt(0)
	global_load_dwordx2 v[28:29], v31, s[12:13] offset:24 glc
	s_waitcnt vmcnt(0)
	buffer_invl2
	buffer_wbinvl1_vol
	global_load_dwordx2 v[10:11], v31, s[12:13] offset:40
	global_load_dwordx2 v[26:27], v31, s[12:13]
	s_waitcnt vmcnt(1)
	v_and_b32_e32 v7, v10, v28
	v_and_b32_e32 v10, v11, v29
	v_mul_lo_u32 v10, v10, 24
	v_mul_hi_u32 v11, v7, 24
	v_mul_lo_u32 v7, v7, 24
	v_add_u32_e32 v11, v11, v10
	s_waitcnt vmcnt(0)
	v_add_co_u32_e32 v10, vcc, v26, v7
	v_addc_co_u32_e32 v11, vcc, v27, v11, vcc
	global_load_dwordx2 v[26:27], v[10:11], off glc
	s_waitcnt vmcnt(0)
	global_atomic_cmpswap_x2 v[10:11], v31, v[26:29], s[12:13] offset:24 glc
	s_waitcnt vmcnt(0)
	buffer_invl2
	buffer_wbinvl1_vol
	v_cmp_ne_u64_e32 vcc, v[10:11], v[28:29]
	s_and_saveexec_b64 s[16:17], vcc
	s_cbranch_execz .LBB26_64
; %bb.61:                               ;   in Loop: Header=BB26_3 Depth=1
	s_mov_b64 s[18:19], 0
.LBB26_62:                              ;   Parent Loop BB26_3 Depth=1
                                        ; =>  This Inner Loop Header: Depth=2
	s_sleep 1
	global_load_dwordx2 v[26:27], v31, s[12:13] offset:40
	global_load_dwordx2 v[36:37], v31, s[12:13]
	v_pk_mov_b32 v[28:29], v[10:11], v[10:11] op_sel:[0,1]
	s_waitcnt vmcnt(1)
	v_and_b32_e32 v10, v26, v28
	s_waitcnt vmcnt(0)
	v_mad_u64_u32 v[10:11], s[20:21], v10, 24, v[36:37]
	v_and_b32_e32 v7, v27, v29
	v_mov_b32_e32 v26, v11
	v_mad_u64_u32 v[26:27], s[20:21], v7, 24, v[26:27]
	v_mov_b32_e32 v11, v26
	global_load_dwordx2 v[26:27], v[10:11], off glc
	s_waitcnt vmcnt(0)
	global_atomic_cmpswap_x2 v[10:11], v31, v[26:29], s[12:13] offset:24 glc
	s_waitcnt vmcnt(0)
	buffer_invl2
	buffer_wbinvl1_vol
	v_cmp_eq_u64_e32 vcc, v[10:11], v[28:29]
	s_or_b64 s[18:19], vcc, s[18:19]
	s_andn2_b64 exec, exec, s[18:19]
	s_cbranch_execnz .LBB26_62
; %bb.63:                               ;   in Loop: Header=BB26_3 Depth=1
	s_or_b64 exec, exec, s[18:19]
.LBB26_64:                              ;   in Loop: Header=BB26_3 Depth=1
	s_or_b64 exec, exec, s[16:17]
.LBB26_65:                              ;   in Loop: Header=BB26_3 Depth=1
	s_or_b64 exec, exec, s[14:15]
	s_waitcnt lgkmcnt(0)
	global_load_dwordx2 v[36:37], v31, s[12:13] offset:40
	global_load_dwordx4 v[26:29], v31, s[12:13]
	v_readfirstlane_b32 s14, v10
	v_readfirstlane_b32 s15, v11
	s_mov_b64 s[16:17], exec
	s_waitcnt vmcnt(1)
	v_readfirstlane_b32 s18, v36
	v_readfirstlane_b32 s19, v37
	s_and_b64 s[18:19], s[14:15], s[18:19]
	s_mul_i32 s20, s19, 24
	s_mul_hi_u32 s21, s18, 24
	s_mul_i32 s24, s18, 24
	s_add_i32 s20, s21, s20
	v_mov_b32_e32 v7, s20
	s_waitcnt vmcnt(0)
	v_add_co_u32_e32 v36, vcc, s24, v26
	v_addc_co_u32_e32 v37, vcc, v27, v7, vcc
	s_and_saveexec_b64 s[20:21], s[4:5]
	s_cbranch_execz .LBB26_67
; %bb.66:                               ;   in Loop: Header=BB26_3 Depth=1
	v_pk_mov_b32 v[10:11], s[16:17], s[16:17] op_sel:[0,1]
	global_store_dwordx4 v[36:37], v[10:13], off offset:8
.LBB26_67:                              ;   in Loop: Header=BB26_3 Depth=1
	s_or_b64 exec, exec, s[20:21]
	s_lshl_b64 s[16:17], s[18:19], 12
	v_mov_b32_e32 v7, s17
	v_add_co_u32_e32 v10, vcc, s16, v28
	v_addc_co_u32_e32 v7, vcc, v29, v7, vcc
	v_or_b32_e32 v11, 0, v1
	v_cmp_lt_u64_e32 vcc, 56, v[4:5]
	v_or_b32_e32 v28, v0, v6
	v_cndmask_b32_e32 v1, v11, v1, vcc
	v_lshl_add_u32 v11, v34, 2, 28
	v_cndmask_b32_e32 v0, v28, v0, vcc
	v_and_b32_e32 v11, 0x1e0, v11
	v_and_or_b32 v0, v0, s23, v11
	v_lshlrev_b32_e32 v11, 6, v32
	v_readfirstlane_b32 s16, v10
	v_readfirstlane_b32 s17, v7
	s_nop 4
	global_store_dwordx4 v11, v[0:3], s[16:17]
	global_store_dwordx4 v11, v[14:17], s[16:17] offset:16
	global_store_dwordx4 v11, v[18:21], s[16:17] offset:32
	;; [unrolled: 1-line block ×3, first 2 shown]
	s_and_saveexec_b64 s[16:17], s[4:5]
	s_cbranch_execz .LBB26_75
; %bb.68:                               ;   in Loop: Header=BB26_3 Depth=1
	global_load_dwordx2 v[18:19], v31, s[12:13] offset:32 glc
	global_load_dwordx2 v[0:1], v31, s[12:13] offset:40
	v_mov_b32_e32 v16, s14
	v_mov_b32_e32 v17, s15
	s_waitcnt vmcnt(0)
	v_readfirstlane_b32 s18, v0
	v_readfirstlane_b32 s19, v1
	s_and_b64 s[18:19], s[18:19], s[14:15]
	s_mul_i32 s19, s19, 24
	s_mul_hi_u32 s20, s18, 24
	s_mul_i32 s18, s18, 24
	s_add_i32 s19, s20, s19
	v_mov_b32_e32 v0, s19
	v_add_co_u32_e32 v14, vcc, s18, v26
	v_addc_co_u32_e32 v15, vcc, v27, v0, vcc
	global_store_dwordx2 v[14:15], v[18:19], off
	buffer_wbl2
	s_waitcnt vmcnt(0)
	global_atomic_cmpswap_x2 v[2:3], v31, v[16:19], s[12:13] offset:32 glc
	s_waitcnt vmcnt(0)
	v_cmp_ne_u64_e32 vcc, v[2:3], v[18:19]
	s_and_saveexec_b64 s[18:19], vcc
	s_cbranch_execz .LBB26_71
; %bb.69:                               ;   in Loop: Header=BB26_3 Depth=1
	s_mov_b64 s[20:21], 0
.LBB26_70:                              ;   Parent Loop BB26_3 Depth=1
                                        ; =>  This Inner Loop Header: Depth=2
	s_sleep 1
	global_store_dwordx2 v[14:15], v[2:3], off
	v_mov_b32_e32 v0, s14
	v_mov_b32_e32 v1, s15
	buffer_wbl2
	s_waitcnt vmcnt(0)
	global_atomic_cmpswap_x2 v[0:1], v31, v[0:3], s[12:13] offset:32 glc
	s_waitcnt vmcnt(0)
	v_cmp_eq_u64_e32 vcc, v[0:1], v[2:3]
	s_or_b64 s[20:21], vcc, s[20:21]
	v_pk_mov_b32 v[2:3], v[0:1], v[0:1] op_sel:[0,1]
	s_andn2_b64 exec, exec, s[20:21]
	s_cbranch_execnz .LBB26_70
.LBB26_71:                              ;   in Loop: Header=BB26_3 Depth=1
	s_or_b64 exec, exec, s[18:19]
	global_load_dwordx2 v[0:1], v31, s[12:13] offset:16
	s_mov_b64 s[20:21], exec
	v_mbcnt_lo_u32_b32 v2, s20, 0
	v_mbcnt_hi_u32_b32 v2, s21, v2
	v_cmp_eq_u32_e32 vcc, 0, v2
	s_and_saveexec_b64 s[18:19], vcc
	s_cbranch_execz .LBB26_73
; %bb.72:                               ;   in Loop: Header=BB26_3 Depth=1
	s_bcnt1_i32_b64 s20, s[20:21]
	v_mov_b32_e32 v30, s20
	buffer_wbl2
	s_waitcnt vmcnt(0)
	global_atomic_add_x2 v[0:1], v[30:31], off offset:8
.LBB26_73:                              ;   in Loop: Header=BB26_3 Depth=1
	s_or_b64 exec, exec, s[18:19]
	s_waitcnt vmcnt(0)
	global_load_dwordx2 v[2:3], v[0:1], off offset:16
	s_waitcnt vmcnt(0)
	v_cmp_eq_u64_e32 vcc, 0, v[2:3]
	s_cbranch_vccnz .LBB26_75
; %bb.74:                               ;   in Loop: Header=BB26_3 Depth=1
	global_load_dword v30, v[0:1], off offset:24
	s_waitcnt vmcnt(0)
	v_and_b32_e32 v0, 0xffffff, v30
	v_readfirstlane_b32 m0, v0
	buffer_wbl2
	global_store_dwordx2 v[2:3], v[30:31], off
	s_sendmsg sendmsg(MSG_INTERRUPT)
.LBB26_75:                              ;   in Loop: Header=BB26_3 Depth=1
	s_or_b64 exec, exec, s[16:17]
	v_add_co_u32_e32 v0, vcc, v10, v11
	v_addc_co_u32_e32 v1, vcc, 0, v7, vcc
	s_branch .LBB26_79
.LBB26_76:                              ;   in Loop: Header=BB26_79 Depth=2
	s_or_b64 exec, exec, s[16:17]
	v_readfirstlane_b32 s16, v2
	s_cmp_eq_u32 s16, 0
	s_cbranch_scc1 .LBB26_78
; %bb.77:                               ;   in Loop: Header=BB26_79 Depth=2
	s_sleep 1
	s_cbranch_execnz .LBB26_79
	s_branch .LBB26_81
.LBB26_78:                              ;   in Loop: Header=BB26_3 Depth=1
	s_branch .LBB26_81
.LBB26_79:                              ;   Parent Loop BB26_3 Depth=1
                                        ; =>  This Inner Loop Header: Depth=2
	v_mov_b32_e32 v2, 1
	s_and_saveexec_b64 s[16:17], s[4:5]
	s_cbranch_execz .LBB26_76
; %bb.80:                               ;   in Loop: Header=BB26_79 Depth=2
	global_load_dword v2, v[36:37], off offset:20 glc
	s_waitcnt vmcnt(0)
	buffer_invl2
	buffer_wbinvl1_vol
	v_and_b32_e32 v2, 1, v2
	s_branch .LBB26_76
.LBB26_81:                              ;   in Loop: Header=BB26_3 Depth=1
	global_load_dwordx4 v[0:3], v[0:1], off
	s_and_saveexec_b64 s[16:17], s[4:5]
	s_cbranch_execz .LBB26_2
; %bb.82:                               ;   in Loop: Header=BB26_3 Depth=1
	global_load_dwordx2 v[2:3], v31, s[12:13] offset:40
	global_load_dwordx2 v[10:11], v31, s[12:13] offset:24 glc
	global_load_dwordx2 v[18:19], v31, s[12:13]
	v_mov_b32_e32 v7, s15
	s_waitcnt vmcnt(2)
	v_add_co_u32_e32 v17, vcc, 1, v2
	v_addc_co_u32_e32 v20, vcc, 0, v3, vcc
	v_add_co_u32_e32 v14, vcc, s14, v17
	v_addc_co_u32_e32 v15, vcc, v20, v7, vcc
	v_cmp_eq_u64_e32 vcc, 0, v[14:15]
	v_cndmask_b32_e32 v15, v15, v20, vcc
	v_cndmask_b32_e32 v14, v14, v17, vcc
	v_and_b32_e32 v3, v15, v3
	v_and_b32_e32 v2, v14, v2
	v_mul_lo_u32 v3, v3, 24
	v_mul_hi_u32 v7, v2, 24
	v_mul_lo_u32 v2, v2, 24
	v_add_u32_e32 v3, v7, v3
	s_waitcnt vmcnt(0)
	v_add_co_u32_e32 v2, vcc, v18, v2
	v_addc_co_u32_e32 v3, vcc, v19, v3, vcc
	v_mov_b32_e32 v16, v10
	global_store_dwordx2 v[2:3], v[10:11], off
	v_mov_b32_e32 v17, v11
	buffer_wbl2
	s_waitcnt vmcnt(0)
	global_atomic_cmpswap_x2 v[16:17], v31, v[14:17], s[12:13] offset:24 glc
	s_waitcnt vmcnt(0)
	v_cmp_ne_u64_e32 vcc, v[16:17], v[10:11]
	s_and_b64 exec, exec, vcc
	s_cbranch_execz .LBB26_2
; %bb.83:                               ;   in Loop: Header=BB26_3 Depth=1
	s_mov_b64 s[4:5], 0
.LBB26_84:                              ;   Parent Loop BB26_3 Depth=1
                                        ; =>  This Inner Loop Header: Depth=2
	s_sleep 1
	global_store_dwordx2 v[2:3], v[16:17], off
	buffer_wbl2
	s_waitcnt vmcnt(0)
	global_atomic_cmpswap_x2 v[10:11], v31, v[14:17], s[12:13] offset:24 glc
	s_waitcnt vmcnt(0)
	v_cmp_eq_u64_e32 vcc, v[10:11], v[16:17]
	s_or_b64 s[4:5], vcc, s[4:5]
	v_pk_mov_b32 v[16:17], v[10:11], v[10:11] op_sel:[0,1]
	s_andn2_b64 exec, exec, s[4:5]
	s_cbranch_execnz .LBB26_84
	s_branch .LBB26_2
.LBB26_85:
	s_or_b64 exec, exec, s[6:7]
                                        ; implicit-def: $vgpr0
                                        ; implicit-def: $vgpr1
                                        ; implicit-def: $vgpr2
.LBB26_86:
	s_andn2_saveexec_b64 s[6:7], s[10:11]
	s_cbranch_execz .LBB26_109
; %bb.87:
	s_load_dwordx2 s[8:9], s[8:9], 0x50
	s_waitcnt vmcnt(0)
	v_mbcnt_hi_u32_b32 v3, -1, v2
	v_readfirstlane_b32 s4, v3
	v_cmp_eq_u32_e64 s[4:5], s4, v3
	v_pk_mov_b32 v[8:9], 0, 0
	s_and_saveexec_b64 s[10:11], s[4:5]
	s_cbranch_execz .LBB26_93
; %bb.88:
	v_mov_b32_e32 v2, 0
	s_waitcnt lgkmcnt(0)
	global_load_dwordx2 v[6:7], v2, s[8:9] offset:24 glc
	s_waitcnt vmcnt(0)
	buffer_invl2
	buffer_wbinvl1_vol
	global_load_dwordx2 v[4:5], v2, s[8:9] offset:40
	global_load_dwordx2 v[8:9], v2, s[8:9]
	s_waitcnt vmcnt(1)
	v_and_b32_e32 v4, v4, v6
	v_and_b32_e32 v5, v5, v7
	v_mul_lo_u32 v5, v5, 24
	v_mul_hi_u32 v10, v4, 24
	v_mul_lo_u32 v4, v4, 24
	v_add_u32_e32 v5, v10, v5
	s_waitcnt vmcnt(0)
	v_add_co_u32_e32 v4, vcc, v8, v4
	v_addc_co_u32_e32 v5, vcc, v9, v5, vcc
	global_load_dwordx2 v[4:5], v[4:5], off glc
	s_waitcnt vmcnt(0)
	global_atomic_cmpswap_x2 v[8:9], v2, v[4:7], s[8:9] offset:24 glc
	s_waitcnt vmcnt(0)
	buffer_invl2
	buffer_wbinvl1_vol
	v_cmp_ne_u64_e32 vcc, v[8:9], v[6:7]
	s_and_saveexec_b64 s[12:13], vcc
	s_cbranch_execz .LBB26_92
; %bb.89:
	s_mov_b64 s[14:15], 0
.LBB26_90:                              ; =>This Inner Loop Header: Depth=1
	s_sleep 1
	global_load_dwordx2 v[4:5], v2, s[8:9] offset:40
	global_load_dwordx2 v[10:11], v2, s[8:9]
	v_pk_mov_b32 v[6:7], v[8:9], v[8:9] op_sel:[0,1]
	s_waitcnt vmcnt(1)
	v_and_b32_e32 v4, v4, v6
	v_and_b32_e32 v9, v5, v7
	s_waitcnt vmcnt(0)
	v_mad_u64_u32 v[4:5], s[16:17], v4, 24, v[10:11]
	v_mov_b32_e32 v8, v5
	v_mad_u64_u32 v[8:9], s[16:17], v9, 24, v[8:9]
	v_mov_b32_e32 v5, v8
	global_load_dwordx2 v[4:5], v[4:5], off glc
	s_waitcnt vmcnt(0)
	global_atomic_cmpswap_x2 v[8:9], v2, v[4:7], s[8:9] offset:24 glc
	s_waitcnt vmcnt(0)
	buffer_invl2
	buffer_wbinvl1_vol
	v_cmp_eq_u64_e32 vcc, v[8:9], v[6:7]
	s_or_b64 s[14:15], vcc, s[14:15]
	s_andn2_b64 exec, exec, s[14:15]
	s_cbranch_execnz .LBB26_90
; %bb.91:
	s_or_b64 exec, exec, s[14:15]
.LBB26_92:
	s_or_b64 exec, exec, s[12:13]
.LBB26_93:
	s_or_b64 exec, exec, s[10:11]
	v_mov_b32_e32 v2, 0
	s_waitcnt lgkmcnt(0)
	global_load_dwordx2 v[10:11], v2, s[8:9] offset:40
	global_load_dwordx4 v[4:7], v2, s[8:9]
	v_readfirstlane_b32 s10, v8
	v_readfirstlane_b32 s11, v9
	s_mov_b64 s[12:13], exec
	s_waitcnt vmcnt(1)
	v_readfirstlane_b32 s14, v10
	v_readfirstlane_b32 s15, v11
	s_and_b64 s[14:15], s[10:11], s[14:15]
	s_mul_i32 s16, s15, 24
	s_mul_hi_u32 s17, s14, 24
	s_mul_i32 s18, s14, 24
	s_add_i32 s16, s17, s16
	v_mov_b32_e32 v9, s16
	s_waitcnt vmcnt(0)
	v_add_co_u32_e32 v8, vcc, s18, v4
	v_addc_co_u32_e32 v9, vcc, v5, v9, vcc
	s_and_saveexec_b64 s[16:17], s[4:5]
	s_cbranch_execz .LBB26_95
; %bb.94:
	v_pk_mov_b32 v[10:11], s[12:13], s[12:13] op_sel:[0,1]
	v_mov_b32_e32 v12, 2
	v_mov_b32_e32 v13, 1
	global_store_dwordx4 v[8:9], v[10:13], off offset:8
.LBB26_95:
	s_or_b64 exec, exec, s[16:17]
	s_lshl_b64 s[12:13], s[14:15], 12
	v_mov_b32_e32 v10, s13
	v_add_co_u32_e32 v6, vcc, s12, v6
	s_movk_i32 s12, 0xff1f
	v_addc_co_u32_e32 v7, vcc, v7, v10, vcc
	v_and_or_b32 v0, v0, s12, 32
	s_mov_b32 s12, 0
	v_lshlrev_b32_e32 v10, 6, v3
	v_mov_b32_e32 v3, v2
	v_readfirstlane_b32 s16, v6
	v_readfirstlane_b32 s17, v7
	s_mov_b32 s13, s12
	s_mov_b32 s14, s12
	;; [unrolled: 1-line block ×3, first 2 shown]
	s_nop 1
	global_store_dwordx4 v10, v[0:3], s[16:17]
	s_nop 0
	v_pk_mov_b32 v[0:1], s[12:13], s[12:13] op_sel:[0,1]
	v_pk_mov_b32 v[2:3], s[14:15], s[14:15] op_sel:[0,1]
	global_store_dwordx4 v10, v[0:3], s[16:17] offset:16
	global_store_dwordx4 v10, v[0:3], s[16:17] offset:32
	;; [unrolled: 1-line block ×3, first 2 shown]
	s_and_saveexec_b64 s[12:13], s[4:5]
	s_cbranch_execz .LBB26_103
; %bb.96:
	v_mov_b32_e32 v6, 0
	global_load_dwordx2 v[12:13], v6, s[8:9] offset:32 glc
	global_load_dwordx2 v[0:1], v6, s[8:9] offset:40
	v_mov_b32_e32 v10, s10
	v_mov_b32_e32 v11, s11
	s_waitcnt vmcnt(0)
	v_and_b32_e32 v0, s10, v0
	v_and_b32_e32 v1, s11, v1
	v_mul_lo_u32 v1, v1, 24
	v_mul_hi_u32 v2, v0, 24
	v_mul_lo_u32 v0, v0, 24
	v_add_u32_e32 v1, v2, v1
	v_add_co_u32_e32 v4, vcc, v4, v0
	v_addc_co_u32_e32 v5, vcc, v5, v1, vcc
	global_store_dwordx2 v[4:5], v[12:13], off
	buffer_wbl2
	s_waitcnt vmcnt(0)
	global_atomic_cmpswap_x2 v[2:3], v6, v[10:13], s[8:9] offset:32 glc
	s_waitcnt vmcnt(0)
	v_cmp_ne_u64_e32 vcc, v[2:3], v[12:13]
	s_and_saveexec_b64 s[14:15], vcc
	s_cbranch_execz .LBB26_99
; %bb.97:
	s_mov_b64 s[16:17], 0
.LBB26_98:                              ; =>This Inner Loop Header: Depth=1
	s_sleep 1
	global_store_dwordx2 v[4:5], v[2:3], off
	v_mov_b32_e32 v0, s10
	v_mov_b32_e32 v1, s11
	buffer_wbl2
	s_waitcnt vmcnt(0)
	global_atomic_cmpswap_x2 v[0:1], v6, v[0:3], s[8:9] offset:32 glc
	s_waitcnt vmcnt(0)
	v_cmp_eq_u64_e32 vcc, v[0:1], v[2:3]
	s_or_b64 s[16:17], vcc, s[16:17]
	v_pk_mov_b32 v[2:3], v[0:1], v[0:1] op_sel:[0,1]
	s_andn2_b64 exec, exec, s[16:17]
	s_cbranch_execnz .LBB26_98
.LBB26_99:
	s_or_b64 exec, exec, s[14:15]
	v_mov_b32_e32 v3, 0
	global_load_dwordx2 v[0:1], v3, s[8:9] offset:16
	s_mov_b64 s[14:15], exec
	v_mbcnt_lo_u32_b32 v2, s14, 0
	v_mbcnt_hi_u32_b32 v2, s15, v2
	v_cmp_eq_u32_e32 vcc, 0, v2
	s_and_saveexec_b64 s[16:17], vcc
	s_cbranch_execz .LBB26_101
; %bb.100:
	s_bcnt1_i32_b64 s14, s[14:15]
	v_mov_b32_e32 v2, s14
	buffer_wbl2
	s_waitcnt vmcnt(0)
	global_atomic_add_x2 v[0:1], v[2:3], off offset:8
.LBB26_101:
	s_or_b64 exec, exec, s[16:17]
	s_waitcnt vmcnt(0)
	global_load_dwordx2 v[2:3], v[0:1], off offset:16
	s_waitcnt vmcnt(0)
	v_cmp_eq_u64_e32 vcc, 0, v[2:3]
	s_cbranch_vccnz .LBB26_103
; %bb.102:
	global_load_dword v0, v[0:1], off offset:24
	v_mov_b32_e32 v1, 0
	buffer_wbl2
	s_waitcnt vmcnt(0)
	global_store_dwordx2 v[2:3], v[0:1], off
	v_and_b32_e32 v0, 0xffffff, v0
	v_readfirstlane_b32 m0, v0
	s_sendmsg sendmsg(MSG_INTERRUPT)
.LBB26_103:
	s_or_b64 exec, exec, s[12:13]
	s_branch .LBB26_107
.LBB26_104:                             ;   in Loop: Header=BB26_107 Depth=1
	s_or_b64 exec, exec, s[12:13]
	v_readfirstlane_b32 s12, v0
	s_cmp_eq_u32 s12, 0
	s_cbranch_scc1 .LBB26_106
; %bb.105:                              ;   in Loop: Header=BB26_107 Depth=1
	s_sleep 1
	s_cbranch_execnz .LBB26_107
	s_branch .LBB26_110
.LBB26_106:
	s_branch .LBB26_110
.LBB26_107:                             ; =>This Inner Loop Header: Depth=1
	v_mov_b32_e32 v0, 1
	s_and_saveexec_b64 s[12:13], s[4:5]
	s_cbranch_execz .LBB26_104
; %bb.108:                              ;   in Loop: Header=BB26_107 Depth=1
	global_load_dword v0, v[8:9], off offset:20 glc
	s_waitcnt vmcnt(0)
	buffer_invl2
	buffer_wbinvl1_vol
	v_and_b32_e32 v0, 1, v0
	s_branch .LBB26_104
.LBB26_109:
	s_or_b64 exec, exec, s[6:7]
	s_waitcnt vmcnt(0) lgkmcnt(0)
	s_setpc_b64 s[30:31]
.LBB26_110:
	s_and_saveexec_b64 s[12:13], s[4:5]
	s_cbranch_execz .LBB26_113
; %bb.111:
	v_mov_b32_e32 v6, 0
	global_load_dwordx2 v[4:5], v6, s[8:9] offset:40
	global_load_dwordx2 v[8:9], v6, s[8:9] offset:24 glc
	global_load_dwordx2 v[10:11], v6, s[8:9]
	v_mov_b32_e32 v1, s11
	s_mov_b64 s[4:5], 0
	s_waitcnt vmcnt(2)
	v_add_co_u32_e32 v3, vcc, 1, v4
	v_addc_co_u32_e32 v7, vcc, 0, v5, vcc
	v_add_co_u32_e32 v0, vcc, s10, v3
	v_addc_co_u32_e32 v1, vcc, v7, v1, vcc
	v_cmp_eq_u64_e32 vcc, 0, v[0:1]
	v_cndmask_b32_e32 v1, v1, v7, vcc
	v_cndmask_b32_e32 v0, v0, v3, vcc
	v_and_b32_e32 v3, v1, v5
	v_and_b32_e32 v4, v0, v4
	v_mul_lo_u32 v3, v3, 24
	v_mul_hi_u32 v5, v4, 24
	v_mul_lo_u32 v4, v4, 24
	v_add_u32_e32 v3, v5, v3
	s_waitcnt vmcnt(0)
	v_add_co_u32_e32 v4, vcc, v10, v4
	v_addc_co_u32_e32 v5, vcc, v11, v3, vcc
	v_mov_b32_e32 v2, v8
	global_store_dwordx2 v[4:5], v[8:9], off
	v_mov_b32_e32 v3, v9
	buffer_wbl2
	s_waitcnt vmcnt(0)
	global_atomic_cmpswap_x2 v[2:3], v6, v[0:3], s[8:9] offset:24 glc
	s_waitcnt vmcnt(0)
	v_cmp_ne_u64_e32 vcc, v[2:3], v[8:9]
	s_and_b64 exec, exec, vcc
	s_cbranch_execz .LBB26_113
.LBB26_112:                             ; =>This Inner Loop Header: Depth=1
	s_sleep 1
	global_store_dwordx2 v[4:5], v[2:3], off
	buffer_wbl2
	s_waitcnt vmcnt(0)
	global_atomic_cmpswap_x2 v[8:9], v6, v[0:3], s[8:9] offset:24 glc
	s_waitcnt vmcnt(0)
	v_cmp_eq_u64_e32 vcc, v[8:9], v[2:3]
	s_or_b64 s[4:5], vcc, s[4:5]
	v_pk_mov_b32 v[2:3], v[8:9], v[8:9] op_sel:[0,1]
	s_andn2_b64 exec, exec, s[4:5]
	s_cbranch_execnz .LBB26_112
.LBB26_113:
	s_or_b64 exec, exec, s[12:13]
	s_or_b64 exec, exec, s[6:7]
	s_waitcnt vmcnt(0) lgkmcnt(0)
	s_setpc_b64 s[30:31]
.Lfunc_end26:
	.size	__ockl_fprintf_append_string_n, .Lfunc_end26-__ockl_fprintf_append_string_n
                                        ; -- End function
	.section	.AMDGPU.csdata,"",@progbits
; Function info:
; codeLenInByte = 4372
; NumSgprs: 36
; NumVgprs: 38
; NumAgprs: 0
; TotalNumVgprs: 38
; ScratchSize: 0
; MemoryBound: 0
	.text
	.p2align	2                               ; -- Begin function __assert_fail
	.type	__assert_fail,@function
__assert_fail:                          ; @__assert_fail
; %bb.0:
	s_waitcnt vmcnt(0) expcnt(0) lgkmcnt(0)
	s_mov_b32 s25, s33
	s_mov_b32 s33, s32
	s_or_saveexec_b64 s[4:5], -1
	buffer_store_dword v40, off, s[0:3], s33 offset:48 ; 4-byte Folded Spill
	s_mov_b64 exec, s[4:5]
	v_writelane_b32 v40, s30, 0
	s_addk_i32 s32, 0x1000
	v_writelane_b32 v40, s31, 1
	s_getpc_b64 s[4:5]
	s_add_u32 s4, s4, __const.__assert_fail.fmt@rel32@lo+4
	s_addc_u32 s5, s5, __const.__assert_fail.fmt@rel32@hi+12
	s_load_dwordx4 s[4:7], s[4:5], 0x0
	v_mov_b32_e32 v4, v0
	v_mov_b32_e32 v0, 0xa2e
	buffer_store_short v0, off, s[0:3], s33 offset:44
	v_mov_b32_e32 v0, 0x64656c69
	buffer_store_dword v0, off, s[0:3], s33 offset:40
	v_mov_b32_e32 v0, 0x61662027
	s_getpc_b64 s[10:11]
	s_add_u32 s10, s10, __const.__assert_fail.fmt@rel32@lo+20
	s_addc_u32 s11, s11, __const.__assert_fail.fmt@rel32@hi+28
	buffer_store_dword v0, off, s[0:3], s33 offset:36
	v_mov_b32_e32 v0, 0x73256020
	s_load_dwordx4 s[12:15], s[10:11], 0x0
	buffer_store_dword v0, off, s[0:3], s33 offset:32
	s_waitcnt lgkmcnt(0)
	v_mov_b32_e32 v0, s7
	buffer_store_dword v0, off, s[0:3], s33 offset:12
	v_mov_b32_e32 v0, s6
	buffer_store_dword v0, off, s[0:3], s33 offset:8
	;; [unrolled: 2-line block ×3, first 2 shown]
	v_mov_b32_e32 v0, s4
	buffer_store_dword v0, off, s[0:3], s33
	v_mov_b32_e32 v0, s15
	buffer_store_dword v0, off, s[0:3], s33 offset:28
	v_mov_b32_e32 v0, s14
	buffer_store_dword v0, off, s[0:3], s33 offset:24
	;; [unrolled: 2-line block ×3, first 2 shown]
	v_mov_b32_e32 v0, s12
	s_load_dwordx2 s[10:11], s[8:9], 0x50
	buffer_store_dword v0, off, s[0:3], s33 offset:16
	v_mbcnt_lo_u32_b32 v0, -1, 0
	v_mbcnt_hi_u32_b32 v37, -1, v0
	v_readfirstlane_b32 s4, v37
	v_mov_b32_e32 v5, v1
	v_mov_b32_e32 v8, 0
	v_cmp_eq_u32_e64 s[4:5], s4, v37
	v_pk_mov_b32 v[6:7], 0, 0
	buffer_store_byte v8, off, s[0:3], s33 offset:46
	s_and_saveexec_b64 s[6:7], s[4:5]
	s_cbranch_execz .LBB27_6
; %bb.1:
	s_waitcnt lgkmcnt(0)
	global_load_dwordx2 v[2:3], v8, s[10:11] offset:24 glc
	s_waitcnt vmcnt(0)
	buffer_invl2
	buffer_wbinvl1_vol
	global_load_dwordx2 v[0:1], v8, s[10:11] offset:40
	global_load_dwordx2 v[6:7], v8, s[10:11]
	s_waitcnt vmcnt(1)
	v_and_b32_e32 v0, v0, v2
	v_and_b32_e32 v1, v1, v3
	v_mul_lo_u32 v1, v1, 24
	v_mul_hi_u32 v9, v0, 24
	v_mul_lo_u32 v0, v0, 24
	v_add_u32_e32 v1, v9, v1
	s_waitcnt vmcnt(0)
	v_add_co_u32_e32 v0, vcc, v6, v0
	v_addc_co_u32_e32 v1, vcc, v7, v1, vcc
	global_load_dwordx2 v[0:1], v[0:1], off glc
	s_waitcnt vmcnt(0)
	global_atomic_cmpswap_x2 v[6:7], v8, v[0:3], s[10:11] offset:24 glc
	s_waitcnt vmcnt(0)
	buffer_invl2
	buffer_wbinvl1_vol
	v_cmp_ne_u64_e32 vcc, v[6:7], v[2:3]
	s_and_saveexec_b64 s[12:13], vcc
	s_cbranch_execz .LBB27_5
; %bb.2:
	s_mov_b64 s[14:15], 0
.LBB27_3:                               ; =>This Inner Loop Header: Depth=1
	s_sleep 1
	global_load_dwordx2 v[0:1], v8, s[10:11] offset:40
	global_load_dwordx2 v[10:11], v8, s[10:11]
	v_pk_mov_b32 v[2:3], v[6:7], v[6:7] op_sel:[0,1]
	s_waitcnt vmcnt(1)
	v_and_b32_e32 v0, v0, v2
	v_and_b32_e32 v7, v1, v3
	s_waitcnt vmcnt(0)
	v_mad_u64_u32 v[0:1], s[16:17], v0, 24, v[10:11]
	v_mov_b32_e32 v6, v1
	v_mad_u64_u32 v[6:7], s[16:17], v7, 24, v[6:7]
	v_mov_b32_e32 v1, v6
	global_load_dwordx2 v[0:1], v[0:1], off glc
	s_waitcnt vmcnt(0)
	global_atomic_cmpswap_x2 v[6:7], v8, v[0:3], s[10:11] offset:24 glc
	s_waitcnt vmcnt(0)
	buffer_invl2
	buffer_wbinvl1_vol
	v_cmp_eq_u64_e32 vcc, v[6:7], v[2:3]
	s_or_b64 s[14:15], vcc, s[14:15]
	s_andn2_b64 exec, exec, s[14:15]
	s_cbranch_execnz .LBB27_3
; %bb.4:
	s_or_b64 exec, exec, s[14:15]
.LBB27_5:
	s_or_b64 exec, exec, s[12:13]
.LBB27_6:
	s_or_b64 exec, exec, s[6:7]
	s_waitcnt lgkmcnt(0)
	global_load_dwordx2 v[10:11], v8, s[10:11] offset:40
	global_load_dwordx4 v[0:3], v8, s[10:11]
	v_readfirstlane_b32 s6, v6
	v_readfirstlane_b32 s7, v7
	s_mov_b64 s[12:13], exec
	s_waitcnt vmcnt(1)
	v_readfirstlane_b32 s14, v10
	v_readfirstlane_b32 s15, v11
	s_and_b64 s[14:15], s[6:7], s[14:15]
	s_mul_i32 s16, s15, 24
	s_mul_hi_u32 s17, s14, 24
	s_mul_i32 s18, s14, 24
	s_add_i32 s16, s17, s16
	v_mov_b32_e32 v6, s16
	s_waitcnt vmcnt(0)
	v_add_co_u32_e32 v10, vcc, s18, v0
	v_addc_co_u32_e32 v11, vcc, v1, v6, vcc
	s_and_saveexec_b64 s[16:17], s[4:5]
	s_cbranch_execz .LBB27_8
; %bb.7:
	v_pk_mov_b32 v[6:7], s[12:13], s[12:13] op_sel:[0,1]
	v_mov_b32_e32 v8, 2
	v_mov_b32_e32 v9, 1
	global_store_dwordx4 v[10:11], v[6:9], off offset:8
.LBB27_8:
	s_or_b64 exec, exec, s[16:17]
	s_lshl_b64 s[12:13], s[14:15], 12
	v_mov_b32_e32 v6, s13
	v_add_co_u32_e32 v2, vcc, s12, v2
	s_mov_b32 s12, 0
	v_addc_co_u32_e32 v3, vcc, v3, v6, vcc
	v_lshlrev_b32_e32 v36, 6, v37
	s_mov_b32 s14, s12
	s_mov_b32 s15, s12
	v_mov_b32_e32 v7, 0
	v_add_co_u32_e32 v12, vcc, v2, v36
	s_mov_b32 s13, s12
	v_pk_mov_b32 v[16:17], s[14:15], s[14:15] op_sel:[0,1]
	v_addc_co_u32_e32 v13, vcc, 0, v3, vcc
	v_mov_b32_e32 v6, 33
	v_mov_b32_e32 v8, 1
	;; [unrolled: 1-line block ×3, first 2 shown]
	v_readfirstlane_b32 s16, v2
	v_readfirstlane_b32 s17, v3
	v_pk_mov_b32 v[14:15], s[12:13], s[12:13] op_sel:[0,1]
	s_nop 3
	global_store_dwordx4 v36, v[6:9], s[16:17]
	global_store_dwordx4 v36, v[14:17], s[16:17] offset:16
	global_store_dwordx4 v36, v[14:17], s[16:17] offset:32
	;; [unrolled: 1-line block ×3, first 2 shown]
	s_and_saveexec_b64 s[12:13], s[4:5]
	s_cbranch_execz .LBB27_16
; %bb.9:
	global_load_dwordx2 v[16:17], v7, s[10:11] offset:32 glc
	global_load_dwordx2 v[2:3], v7, s[10:11] offset:40
	v_mov_b32_e32 v14, s6
	v_mov_b32_e32 v15, s7
	s_waitcnt vmcnt(0)
	v_and_b32_e32 v2, s6, v2
	v_and_b32_e32 v3, s7, v3
	v_mul_lo_u32 v3, v3, 24
	v_mul_hi_u32 v6, v2, 24
	v_mul_lo_u32 v2, v2, 24
	v_add_u32_e32 v3, v6, v3
	v_add_co_u32_e32 v8, vcc, v0, v2
	v_addc_co_u32_e32 v9, vcc, v1, v3, vcc
	global_store_dwordx2 v[8:9], v[16:17], off
	buffer_wbl2
	s_waitcnt vmcnt(0)
	global_atomic_cmpswap_x2 v[2:3], v7, v[14:17], s[10:11] offset:32 glc
	s_waitcnt vmcnt(0)
	v_cmp_ne_u64_e32 vcc, v[2:3], v[16:17]
	s_and_saveexec_b64 s[14:15], vcc
	s_cbranch_execz .LBB27_12
; %bb.10:
	s_mov_b64 s[16:17], 0
.LBB27_11:                              ; =>This Inner Loop Header: Depth=1
	s_sleep 1
	global_store_dwordx2 v[8:9], v[2:3], off
	v_mov_b32_e32 v0, s6
	v_mov_b32_e32 v1, s7
	buffer_wbl2
	s_waitcnt vmcnt(0)
	global_atomic_cmpswap_x2 v[0:1], v7, v[0:3], s[10:11] offset:32 glc
	s_waitcnt vmcnt(0)
	v_cmp_eq_u64_e32 vcc, v[0:1], v[2:3]
	s_or_b64 s[16:17], vcc, s[16:17]
	v_pk_mov_b32 v[2:3], v[0:1], v[0:1] op_sel:[0,1]
	s_andn2_b64 exec, exec, s[16:17]
	s_cbranch_execnz .LBB27_11
.LBB27_12:
	s_or_b64 exec, exec, s[14:15]
	v_mov_b32_e32 v3, 0
	global_load_dwordx2 v[0:1], v3, s[10:11] offset:16
	s_mov_b64 s[14:15], exec
	v_mbcnt_lo_u32_b32 v2, s14, 0
	v_mbcnt_hi_u32_b32 v2, s15, v2
	v_cmp_eq_u32_e32 vcc, 0, v2
	s_and_saveexec_b64 s[16:17], vcc
	s_cbranch_execz .LBB27_14
; %bb.13:
	s_bcnt1_i32_b64 s14, s[14:15]
	v_mov_b32_e32 v2, s14
	buffer_wbl2
	s_waitcnt vmcnt(0)
	global_atomic_add_x2 v[0:1], v[2:3], off offset:8
.LBB27_14:
	s_or_b64 exec, exec, s[16:17]
	s_waitcnt vmcnt(0)
	global_load_dwordx2 v[2:3], v[0:1], off offset:16
	s_waitcnt vmcnt(0)
	v_cmp_eq_u64_e32 vcc, 0, v[2:3]
	s_cbranch_vccnz .LBB27_16
; %bb.15:
	global_load_dword v0, v[0:1], off offset:24
	v_mov_b32_e32 v1, 0
	buffer_wbl2
	s_waitcnt vmcnt(0)
	global_store_dwordx2 v[2:3], v[0:1], off
	v_and_b32_e32 v0, 0xffffff, v0
	v_readfirstlane_b32 m0, v0
	s_sendmsg sendmsg(MSG_INTERRUPT)
.LBB27_16:
	s_or_b64 exec, exec, s[12:13]
	s_branch .LBB27_20
.LBB27_17:                              ;   in Loop: Header=BB27_20 Depth=1
	s_or_b64 exec, exec, s[12:13]
	v_readfirstlane_b32 s12, v0
	s_cmp_eq_u32 s12, 0
	s_cbranch_scc1 .LBB27_19
; %bb.18:                               ;   in Loop: Header=BB27_20 Depth=1
	s_sleep 1
	s_cbranch_execnz .LBB27_20
	s_branch .LBB27_22
.LBB27_19:
	s_branch .LBB27_22
.LBB27_20:                              ; =>This Inner Loop Header: Depth=1
	v_mov_b32_e32 v0, 1
	s_and_saveexec_b64 s[12:13], s[4:5]
	s_cbranch_execz .LBB27_17
; %bb.21:                               ;   in Loop: Header=BB27_20 Depth=1
	global_load_dword v0, v[10:11], off offset:20 glc
	s_waitcnt vmcnt(0)
	buffer_invl2
	buffer_wbinvl1_vol
	v_and_b32_e32 v0, 1, v0
	s_branch .LBB27_17
.LBB27_22:
	global_load_dwordx2 v[6:7], v[12:13], off
	s_and_saveexec_b64 s[12:13], s[4:5]
	s_cbranch_execz .LBB27_25
; %bb.23:
	v_mov_b32_e32 v10, 0
	global_load_dwordx2 v[8:9], v10, s[10:11] offset:40
	global_load_dwordx2 v[12:13], v10, s[10:11] offset:24 glc
	global_load_dwordx2 v[14:15], v10, s[10:11]
	v_mov_b32_e32 v1, s7
	s_mov_b64 s[4:5], 0
	s_waitcnt vmcnt(2)
	v_add_co_u32_e32 v3, vcc, 1, v8
	v_addc_co_u32_e32 v11, vcc, 0, v9, vcc
	v_add_co_u32_e32 v0, vcc, s6, v3
	v_addc_co_u32_e32 v1, vcc, v11, v1, vcc
	v_cmp_eq_u64_e32 vcc, 0, v[0:1]
	v_cndmask_b32_e32 v1, v1, v11, vcc
	v_cndmask_b32_e32 v0, v0, v3, vcc
	v_and_b32_e32 v3, v1, v9
	v_and_b32_e32 v8, v0, v8
	v_mul_lo_u32 v3, v3, 24
	v_mul_hi_u32 v9, v8, 24
	v_mul_lo_u32 v8, v8, 24
	v_add_u32_e32 v3, v9, v3
	s_waitcnt vmcnt(0)
	v_add_co_u32_e32 v8, vcc, v14, v8
	v_addc_co_u32_e32 v9, vcc, v15, v3, vcc
	v_mov_b32_e32 v2, v12
	global_store_dwordx2 v[8:9], v[12:13], off
	v_mov_b32_e32 v3, v13
	buffer_wbl2
	s_waitcnt vmcnt(0)
	global_atomic_cmpswap_x2 v[2:3], v10, v[0:3], s[10:11] offset:24 glc
	s_waitcnt vmcnt(0)
	v_cmp_ne_u64_e32 vcc, v[2:3], v[12:13]
	s_and_b64 exec, exec, vcc
	s_cbranch_execz .LBB27_25
.LBB27_24:                              ; =>This Inner Loop Header: Depth=1
	s_sleep 1
	global_store_dwordx2 v[8:9], v[2:3], off
	buffer_wbl2
	s_waitcnt vmcnt(0)
	global_atomic_cmpswap_x2 v[12:13], v10, v[0:3], s[10:11] offset:24 glc
	s_waitcnt vmcnt(0)
	v_cmp_eq_u64_e32 vcc, v[12:13], v[2:3]
	s_or_b64 s[4:5], vcc, s[4:5]
	v_pk_mov_b32 v[2:3], v[12:13], v[12:13] op_sel:[0,1]
	s_andn2_b64 exec, exec, s[4:5]
	s_cbranch_execnz .LBB27_24
.LBB27_25:
	s_or_b64 exec, exec, s[12:13]
	v_lshrrev_b32_e64 v1, 6, s33
	s_mov_b64 s[4:5], 0
.LBB27_26:                              ; =>This Inner Loop Header: Depth=1
	buffer_load_ubyte v2, v1, s[0:3], 0 offen
	v_add_u32_e32 v0, 1, v1
	v_mov_b32_e32 v1, v0
	s_waitcnt vmcnt(0)
	v_cmp_eq_u16_e32 vcc, 0, v2
	s_or_b64 s[4:5], vcc, s[4:5]
	s_andn2_b64 exec, exec, s[4:5]
	s_cbranch_execnz .LBB27_26
; %bb.27:
	s_or_b64 exec, exec, s[4:5]
	v_lshrrev_b32_e64 v31, 6, s33
	v_cmp_ne_u32_e32 vcc, -1, v31
	s_cbranch_vccz .LBB27_112
; %bb.28:
	v_lshrrev_b32_e64 v1, 6, s33
	v_subrev_u32_e32 v28, v1, v0
	v_ashrrev_i32_e32 v29, 31, v28
	v_and_b32_e32 v30, 2, v6
	v_mov_b32_e32 v33, 0
	v_and_b32_e32 v0, -3, v6
	v_mov_b32_e32 v1, v7
	s_mov_b64 s[12:13], 0
	s_mov_b32 s20, 0
	s_movk_i32 s21, 0xff1f
	v_mov_b32_e32 v10, 2
	v_mov_b32_e32 v11, 1
	s_branch .LBB27_30
.LBB27_29:                              ;   in Loop: Header=BB27_30 Depth=1
	s_or_b64 exec, exec, s[6:7]
	v_sub_co_u32_e32 v28, vcc, v28, v38
	v_subb_co_u32_e32 v29, vcc, v29, v39, vcc
	v_cmp_eq_u64_e32 vcc, 0, v[28:29]
	s_or_b64 s[12:13], vcc, s[12:13]
	v_add_u32_e32 v31, v31, v38
	s_andn2_b64 exec, exec, s[12:13]
	s_cbranch_execz .LBB27_113
.LBB27_30:                              ; =>This Loop Header: Depth=1
                                        ;     Child Loop BB27_33 Depth 2
                                        ;     Child Loop BB27_41 Depth 2
	;; [unrolled: 1-line block ×11, first 2 shown]
	v_cmp_gt_u64_e32 vcc, 56, v[28:29]
	v_cndmask_b32_e32 v38, 56, v28, vcc
	v_cmp_gt_u64_e64 s[4:5], 8, v[28:29]
                                        ; implicit-def: $vgpr2_vgpr3
                                        ; implicit-def: $sgpr14
	s_and_saveexec_b64 s[6:7], s[4:5]
	s_xor_b64 s[6:7], exec, s[6:7]
	s_cbranch_execz .LBB27_36
; %bb.31:                               ;   in Loop: Header=BB27_30 Depth=1
	s_mov_b64 s[16:17], 0
	v_cmp_ne_u64_e64 s[4:5], 0, v[28:29]
	s_waitcnt vmcnt(0)
	v_pk_mov_b32 v[2:3], 0, 0
	s_and_saveexec_b64 s[14:15], s[4:5]
	s_cbranch_execz .LBB27_35
; %bb.32:                               ;   in Loop: Header=BB27_30 Depth=1
	s_mov_b32 s22, 0
	v_pk_mov_b32 v[2:3], 0, 0
	s_mov_b64 s[18:19], 0
.LBB27_33:                              ;   Parent Loop BB27_30 Depth=1
                                        ; =>  This Inner Loop Header: Depth=2
	v_add_u32_e32 v8, s22, v31
	buffer_load_ubyte v8, v8, s[0:3], 0 offen
	v_mov_b32_e32 v9, s20
	s_add_i32 s22, s22, 1
	v_cmp_eq_u32_e64 s[4:5], s22, v38
	s_waitcnt vmcnt(0)
	v_and_b32_e32 v8, 0xffff, v8
	v_lshlrev_b64 v[8:9], s18, v[8:9]
	s_add_u32 s18, s18, 8
	s_addc_u32 s19, s19, 0
	v_or_b32_e32 v3, v9, v3
	s_or_b64 s[16:17], s[4:5], s[16:17]
	v_or_b32_e32 v2, v8, v2
	s_andn2_b64 exec, exec, s[16:17]
	s_cbranch_execnz .LBB27_33
; %bb.34:                               ;   in Loop: Header=BB27_30 Depth=1
	s_or_b64 exec, exec, s[16:17]
.LBB27_35:                              ;   in Loop: Header=BB27_30 Depth=1
	s_or_b64 exec, exec, s[14:15]
	s_mov_b32 s14, 0
.LBB27_36:                              ;   in Loop: Header=BB27_30 Depth=1
	s_or_saveexec_b64 s[4:5], s[6:7]
	v_mov_b32_e32 v9, s14
	v_mov_b32_e32 v8, v31
	s_xor_b64 exec, exec, s[4:5]
	s_cbranch_execz .LBB27_38
; %bb.37:                               ;   in Loop: Header=BB27_30 Depth=1
	buffer_load_dword v2, v31, s[0:3], 0 offen offset:4
	buffer_load_dword v3, v31, s[0:3], 0 offen
	v_add_u32_e32 v9, -8, v38
	s_waitcnt vmcnt(1)
	v_and_b32_e32 v8, 0xff, v2
	v_and_b32_e32 v12, 0xff00, v2
	s_waitcnt vmcnt(0)
	v_or3_b32 v3, v3, 0, 0
	v_and_b32_e32 v13, 0xff0000, v2
	v_and_b32_e32 v14, 0xff000000, v2
	v_or3_b32 v8, 0, v8, v12
	v_or3_b32 v2, v3, 0, 0
	;; [unrolled: 1-line block ×3, first 2 shown]
	v_add_u32_e32 v8, 8, v31
.LBB27_38:                              ;   in Loop: Header=BB27_30 Depth=1
	s_or_b64 exec, exec, s[4:5]
	v_cmp_gt_u32_e64 s[4:5], 8, v9
                                        ; implicit-def: $vgpr12_vgpr13
                                        ; implicit-def: $sgpr14
	s_and_saveexec_b64 s[6:7], s[4:5]
	s_xor_b64 s[6:7], exec, s[6:7]
	s_cbranch_execz .LBB27_44
; %bb.39:                               ;   in Loop: Header=BB27_30 Depth=1
	v_cmp_ne_u32_e64 s[4:5], 0, v9
	v_pk_mov_b32 v[12:13], 0, 0
	s_and_saveexec_b64 s[14:15], s[4:5]
	s_cbranch_execz .LBB27_43
; %bb.40:                               ;   in Loop: Header=BB27_30 Depth=1
	s_mov_b32 s22, 0
	s_mov_b64 s[16:17], 0
	v_pk_mov_b32 v[12:13], 0, 0
	s_mov_b64 s[18:19], 0
.LBB27_41:                              ;   Parent Loop BB27_30 Depth=1
                                        ; =>  This Inner Loop Header: Depth=2
	v_add_u32_e32 v14, s22, v8
	buffer_load_ubyte v14, v14, s[0:3], 0 offen
	v_mov_b32_e32 v15, s20
	s_add_i32 s22, s22, 1
	v_cmp_eq_u32_e64 s[4:5], s22, v9
	s_waitcnt vmcnt(0)
	v_and_b32_e32 v14, 0xffff, v14
	v_lshlrev_b64 v[14:15], s18, v[14:15]
	s_add_u32 s18, s18, 8
	s_addc_u32 s19, s19, 0
	v_or_b32_e32 v13, v15, v13
	s_or_b64 s[16:17], s[4:5], s[16:17]
	v_or_b32_e32 v12, v14, v12
	s_andn2_b64 exec, exec, s[16:17]
	s_cbranch_execnz .LBB27_41
; %bb.42:                               ;   in Loop: Header=BB27_30 Depth=1
	s_or_b64 exec, exec, s[16:17]
.LBB27_43:                              ;   in Loop: Header=BB27_30 Depth=1
	s_or_b64 exec, exec, s[14:15]
	s_mov_b32 s14, 0
                                        ; implicit-def: $vgpr9
.LBB27_44:                              ;   in Loop: Header=BB27_30 Depth=1
	s_or_saveexec_b64 s[4:5], s[6:7]
	v_mov_b32_e32 v16, s14
	s_xor_b64 exec, exec, s[4:5]
	s_cbranch_execz .LBB27_46
; %bb.45:                               ;   in Loop: Header=BB27_30 Depth=1
	buffer_load_dword v12, v8, s[0:3], 0 offen offset:4
	buffer_load_dword v13, v8, s[0:3], 0 offen
	v_add_u32_e32 v16, -8, v9
	v_add_u32_e32 v8, 8, v8
	s_waitcnt vmcnt(1)
	v_and_b32_e32 v9, 0xff, v12
	v_and_b32_e32 v14, 0xff00, v12
	s_waitcnt vmcnt(0)
	v_or3_b32 v13, v13, 0, 0
	v_and_b32_e32 v15, 0xff0000, v12
	v_and_b32_e32 v17, 0xff000000, v12
	v_or3_b32 v9, 0, v9, v14
	v_or3_b32 v12, v13, 0, 0
	;; [unrolled: 1-line block ×3, first 2 shown]
.LBB27_46:                              ;   in Loop: Header=BB27_30 Depth=1
	s_or_b64 exec, exec, s[4:5]
	v_cmp_gt_u32_e64 s[4:5], 8, v16
                                        ; implicit-def: $sgpr14
	s_and_saveexec_b64 s[6:7], s[4:5]
	s_xor_b64 s[6:7], exec, s[6:7]
	s_cbranch_execz .LBB27_52
; %bb.47:                               ;   in Loop: Header=BB27_30 Depth=1
	v_cmp_ne_u32_e64 s[4:5], 0, v16
	v_pk_mov_b32 v[14:15], 0, 0
	s_and_saveexec_b64 s[14:15], s[4:5]
	s_cbranch_execz .LBB27_51
; %bb.48:                               ;   in Loop: Header=BB27_30 Depth=1
	s_mov_b32 s22, 0
	s_mov_b64 s[16:17], 0
	v_pk_mov_b32 v[14:15], 0, 0
	s_mov_b64 s[18:19], 0
.LBB27_49:                              ;   Parent Loop BB27_30 Depth=1
                                        ; =>  This Inner Loop Header: Depth=2
	v_add_u32_e32 v9, s22, v8
	buffer_load_ubyte v9, v9, s[0:3], 0 offen
	v_mov_b32_e32 v19, s20
	s_add_i32 s22, s22, 1
	v_cmp_eq_u32_e64 s[4:5], s22, v16
	s_waitcnt vmcnt(0)
	v_and_b32_e32 v18, 0xffff, v9
	v_lshlrev_b64 v[18:19], s18, v[18:19]
	s_add_u32 s18, s18, 8
	s_addc_u32 s19, s19, 0
	v_or_b32_e32 v15, v19, v15
	s_or_b64 s[16:17], s[4:5], s[16:17]
	v_or_b32_e32 v14, v18, v14
	s_andn2_b64 exec, exec, s[16:17]
	s_cbranch_execnz .LBB27_49
; %bb.50:                               ;   in Loop: Header=BB27_30 Depth=1
	s_or_b64 exec, exec, s[16:17]
.LBB27_51:                              ;   in Loop: Header=BB27_30 Depth=1
	s_or_b64 exec, exec, s[14:15]
	s_mov_b32 s14, 0
                                        ; implicit-def: $vgpr16
.LBB27_52:                              ;   in Loop: Header=BB27_30 Depth=1
	s_or_saveexec_b64 s[4:5], s[6:7]
	v_mov_b32_e32 v9, s14
	s_xor_b64 exec, exec, s[4:5]
	s_cbranch_execz .LBB27_54
; %bb.53:                               ;   in Loop: Header=BB27_30 Depth=1
	buffer_load_dword v14, v8, s[0:3], 0 offen offset:4
	buffer_load_dword v15, v8, s[0:3], 0 offen
	v_add_u32_e32 v9, -8, v16
	v_add_u32_e32 v8, 8, v8
	s_waitcnt vmcnt(1)
	v_and_b32_e32 v16, 0xff, v14
	v_and_b32_e32 v17, 0xff00, v14
	s_waitcnt vmcnt(0)
	v_or3_b32 v15, v15, 0, 0
	v_and_b32_e32 v18, 0xff0000, v14
	v_and_b32_e32 v19, 0xff000000, v14
	v_or3_b32 v16, 0, v16, v17
	v_or3_b32 v14, v15, 0, 0
	;; [unrolled: 1-line block ×3, first 2 shown]
.LBB27_54:                              ;   in Loop: Header=BB27_30 Depth=1
	s_or_b64 exec, exec, s[4:5]
	v_cmp_gt_u32_e64 s[4:5], 8, v9
                                        ; implicit-def: $vgpr16_vgpr17
                                        ; implicit-def: $sgpr14
	s_and_saveexec_b64 s[6:7], s[4:5]
	s_xor_b64 s[6:7], exec, s[6:7]
	s_cbranch_execz .LBB27_60
; %bb.55:                               ;   in Loop: Header=BB27_30 Depth=1
	v_cmp_ne_u32_e64 s[4:5], 0, v9
	v_pk_mov_b32 v[16:17], 0, 0
	s_and_saveexec_b64 s[14:15], s[4:5]
	s_cbranch_execz .LBB27_59
; %bb.56:                               ;   in Loop: Header=BB27_30 Depth=1
	s_mov_b32 s22, 0
	s_mov_b64 s[16:17], 0
	v_pk_mov_b32 v[16:17], 0, 0
	s_mov_b64 s[18:19], 0
.LBB27_57:                              ;   Parent Loop BB27_30 Depth=1
                                        ; =>  This Inner Loop Header: Depth=2
	v_add_u32_e32 v18, s22, v8
	buffer_load_ubyte v18, v18, s[0:3], 0 offen
	v_mov_b32_e32 v19, s20
	s_add_i32 s22, s22, 1
	v_cmp_eq_u32_e64 s[4:5], s22, v9
	s_waitcnt vmcnt(0)
	v_and_b32_e32 v18, 0xffff, v18
	v_lshlrev_b64 v[18:19], s18, v[18:19]
	s_add_u32 s18, s18, 8
	s_addc_u32 s19, s19, 0
	v_or_b32_e32 v17, v19, v17
	s_or_b64 s[16:17], s[4:5], s[16:17]
	v_or_b32_e32 v16, v18, v16
	s_andn2_b64 exec, exec, s[16:17]
	s_cbranch_execnz .LBB27_57
; %bb.58:                               ;   in Loop: Header=BB27_30 Depth=1
	s_or_b64 exec, exec, s[16:17]
.LBB27_59:                              ;   in Loop: Header=BB27_30 Depth=1
	s_or_b64 exec, exec, s[14:15]
	s_mov_b32 s14, 0
                                        ; implicit-def: $vgpr9
.LBB27_60:                              ;   in Loop: Header=BB27_30 Depth=1
	s_or_saveexec_b64 s[4:5], s[6:7]
	v_mov_b32_e32 v20, s14
	s_xor_b64 exec, exec, s[4:5]
	s_cbranch_execz .LBB27_62
; %bb.61:                               ;   in Loop: Header=BB27_30 Depth=1
	buffer_load_dword v16, v8, s[0:3], 0 offen offset:4
	buffer_load_dword v17, v8, s[0:3], 0 offen
	v_add_u32_e32 v20, -8, v9
	v_add_u32_e32 v8, 8, v8
	s_waitcnt vmcnt(1)
	v_and_b32_e32 v9, 0xff, v16
	v_and_b32_e32 v18, 0xff00, v16
	s_waitcnt vmcnt(0)
	v_or3_b32 v17, v17, 0, 0
	v_and_b32_e32 v19, 0xff0000, v16
	v_and_b32_e32 v21, 0xff000000, v16
	v_or3_b32 v9, 0, v9, v18
	v_or3_b32 v16, v17, 0, 0
	;; [unrolled: 1-line block ×3, first 2 shown]
.LBB27_62:                              ;   in Loop: Header=BB27_30 Depth=1
	s_or_b64 exec, exec, s[4:5]
	v_cmp_gt_u32_e64 s[4:5], 8, v20
                                        ; implicit-def: $sgpr14
	s_and_saveexec_b64 s[6:7], s[4:5]
	s_xor_b64 s[6:7], exec, s[6:7]
	s_cbranch_execz .LBB27_68
; %bb.63:                               ;   in Loop: Header=BB27_30 Depth=1
	v_cmp_ne_u32_e64 s[4:5], 0, v20
	v_pk_mov_b32 v[18:19], 0, 0
	s_and_saveexec_b64 s[14:15], s[4:5]
	s_cbranch_execz .LBB27_67
; %bb.64:                               ;   in Loop: Header=BB27_30 Depth=1
	s_mov_b32 s22, 0
	s_mov_b64 s[16:17], 0
	v_pk_mov_b32 v[18:19], 0, 0
	s_mov_b64 s[18:19], 0
.LBB27_65:                              ;   Parent Loop BB27_30 Depth=1
                                        ; =>  This Inner Loop Header: Depth=2
	v_add_u32_e32 v9, s22, v8
	buffer_load_ubyte v9, v9, s[0:3], 0 offen
	v_mov_b32_e32 v23, s20
	s_add_i32 s22, s22, 1
	v_cmp_eq_u32_e64 s[4:5], s22, v20
	s_waitcnt vmcnt(0)
	v_and_b32_e32 v22, 0xffff, v9
	v_lshlrev_b64 v[22:23], s18, v[22:23]
	s_add_u32 s18, s18, 8
	s_addc_u32 s19, s19, 0
	v_or_b32_e32 v19, v23, v19
	s_or_b64 s[16:17], s[4:5], s[16:17]
	v_or_b32_e32 v18, v22, v18
	s_andn2_b64 exec, exec, s[16:17]
	s_cbranch_execnz .LBB27_65
; %bb.66:                               ;   in Loop: Header=BB27_30 Depth=1
	s_or_b64 exec, exec, s[16:17]
.LBB27_67:                              ;   in Loop: Header=BB27_30 Depth=1
	s_or_b64 exec, exec, s[14:15]
	s_mov_b32 s14, 0
                                        ; implicit-def: $vgpr20
.LBB27_68:                              ;   in Loop: Header=BB27_30 Depth=1
	s_or_saveexec_b64 s[4:5], s[6:7]
	v_mov_b32_e32 v9, s14
	s_xor_b64 exec, exec, s[4:5]
	s_cbranch_execz .LBB27_70
; %bb.69:                               ;   in Loop: Header=BB27_30 Depth=1
	buffer_load_dword v18, v8, s[0:3], 0 offen offset:4
	buffer_load_dword v19, v8, s[0:3], 0 offen
	v_add_u32_e32 v9, -8, v20
	v_add_u32_e32 v8, 8, v8
	s_waitcnt vmcnt(1)
	v_and_b32_e32 v20, 0xff, v18
	v_and_b32_e32 v21, 0xff00, v18
	s_waitcnt vmcnt(0)
	v_or3_b32 v19, v19, 0, 0
	v_and_b32_e32 v22, 0xff0000, v18
	v_and_b32_e32 v23, 0xff000000, v18
	v_or3_b32 v20, 0, v20, v21
	v_or3_b32 v18, v19, 0, 0
	;; [unrolled: 1-line block ×3, first 2 shown]
.LBB27_70:                              ;   in Loop: Header=BB27_30 Depth=1
	s_or_b64 exec, exec, s[4:5]
	v_cmp_gt_u32_e64 s[4:5], 8, v9
                                        ; implicit-def: $vgpr20_vgpr21
                                        ; implicit-def: $sgpr14
	s_and_saveexec_b64 s[6:7], s[4:5]
	s_xor_b64 s[6:7], exec, s[6:7]
	s_cbranch_execz .LBB27_76
; %bb.71:                               ;   in Loop: Header=BB27_30 Depth=1
	v_cmp_ne_u32_e64 s[4:5], 0, v9
	v_pk_mov_b32 v[20:21], 0, 0
	s_and_saveexec_b64 s[14:15], s[4:5]
	s_cbranch_execz .LBB27_75
; %bb.72:                               ;   in Loop: Header=BB27_30 Depth=1
	s_mov_b32 s22, 0
	s_mov_b64 s[16:17], 0
	v_pk_mov_b32 v[20:21], 0, 0
	s_mov_b64 s[18:19], 0
.LBB27_73:                              ;   Parent Loop BB27_30 Depth=1
                                        ; =>  This Inner Loop Header: Depth=2
	v_add_u32_e32 v22, s22, v8
	buffer_load_ubyte v22, v22, s[0:3], 0 offen
	v_mov_b32_e32 v23, s20
	s_add_i32 s22, s22, 1
	v_cmp_eq_u32_e64 s[4:5], s22, v9
	s_waitcnt vmcnt(0)
	v_and_b32_e32 v22, 0xffff, v22
	v_lshlrev_b64 v[22:23], s18, v[22:23]
	s_add_u32 s18, s18, 8
	s_addc_u32 s19, s19, 0
	v_or_b32_e32 v21, v23, v21
	s_or_b64 s[16:17], s[4:5], s[16:17]
	v_or_b32_e32 v20, v22, v20
	s_andn2_b64 exec, exec, s[16:17]
	s_cbranch_execnz .LBB27_73
; %bb.74:                               ;   in Loop: Header=BB27_30 Depth=1
	s_or_b64 exec, exec, s[16:17]
.LBB27_75:                              ;   in Loop: Header=BB27_30 Depth=1
	s_or_b64 exec, exec, s[14:15]
	s_mov_b32 s14, 0
                                        ; implicit-def: $vgpr9
.LBB27_76:                              ;   in Loop: Header=BB27_30 Depth=1
	s_or_saveexec_b64 s[4:5], s[6:7]
	v_mov_b32_e32 v24, s14
	s_xor_b64 exec, exec, s[4:5]
	s_cbranch_execz .LBB27_78
; %bb.77:                               ;   in Loop: Header=BB27_30 Depth=1
	buffer_load_dword v20, v8, s[0:3], 0 offen offset:4
	buffer_load_dword v21, v8, s[0:3], 0 offen
	v_add_u32_e32 v24, -8, v9
	v_add_u32_e32 v8, 8, v8
	s_waitcnt vmcnt(1)
	v_and_b32_e32 v9, 0xff, v20
	v_and_b32_e32 v22, 0xff00, v20
	s_waitcnt vmcnt(0)
	v_or3_b32 v21, v21, 0, 0
	v_and_b32_e32 v23, 0xff0000, v20
	v_and_b32_e32 v25, 0xff000000, v20
	v_or3_b32 v9, 0, v9, v22
	v_or3_b32 v20, v21, 0, 0
	;; [unrolled: 1-line block ×3, first 2 shown]
.LBB27_78:                              ;   in Loop: Header=BB27_30 Depth=1
	s_or_b64 exec, exec, s[4:5]
	v_cmp_gt_u32_e64 s[4:5], 8, v24
	s_and_saveexec_b64 s[6:7], s[4:5]
	s_xor_b64 s[6:7], exec, s[6:7]
	s_cbranch_execz .LBB27_84
; %bb.79:                               ;   in Loop: Header=BB27_30 Depth=1
	v_cmp_ne_u32_e64 s[4:5], 0, v24
	v_pk_mov_b32 v[22:23], 0, 0
	s_and_saveexec_b64 s[14:15], s[4:5]
	s_cbranch_execz .LBB27_83
; %bb.80:                               ;   in Loop: Header=BB27_30 Depth=1
	s_mov_b64 s[16:17], 0
	v_pk_mov_b32 v[22:23], 0, 0
	s_mov_b64 s[18:19], 0
.LBB27_81:                              ;   Parent Loop BB27_30 Depth=1
                                        ; =>  This Inner Loop Header: Depth=2
	buffer_load_ubyte v9, v8, s[0:3], 0 offen
	v_mov_b32_e32 v27, s20
	v_add_u32_e32 v24, -1, v24
	v_cmp_eq_u32_e64 s[4:5], 0, v24
	v_add_u32_e32 v8, 1, v8
	s_waitcnt vmcnt(0)
	v_and_b32_e32 v26, 0xffff, v9
	v_lshlrev_b64 v[26:27], s18, v[26:27]
	s_add_u32 s18, s18, 8
	s_addc_u32 s19, s19, 0
	v_or_b32_e32 v23, v27, v23
	s_or_b64 s[16:17], s[4:5], s[16:17]
	v_or_b32_e32 v22, v26, v22
	s_andn2_b64 exec, exec, s[16:17]
	s_cbranch_execnz .LBB27_81
; %bb.82:                               ;   in Loop: Header=BB27_30 Depth=1
	s_or_b64 exec, exec, s[16:17]
.LBB27_83:                              ;   in Loop: Header=BB27_30 Depth=1
	s_or_b64 exec, exec, s[14:15]
                                        ; implicit-def: $vgpr8
.LBB27_84:                              ;   in Loop: Header=BB27_30 Depth=1
	s_andn2_saveexec_b64 s[4:5], s[6:7]
	s_cbranch_execz .LBB27_86
; %bb.85:                               ;   in Loop: Header=BB27_30 Depth=1
	buffer_load_dword v9, v8, s[0:3], 0 offen offset:4
	buffer_load_dword v22, v8, s[0:3], 0 offen
	s_waitcnt vmcnt(1)
	v_and_b32_e32 v8, 0xff, v9
	v_and_b32_e32 v23, 0xff00, v9
	s_waitcnt vmcnt(0)
	v_or3_b32 v22, v22, 0, 0
	v_and_b32_e32 v24, 0xff0000, v9
	v_and_b32_e32 v9, 0xff000000, v9
	v_or3_b32 v8, 0, v8, v23
	v_or3_b32 v23, v8, v24, v9
	;; [unrolled: 1-line block ×3, first 2 shown]
.LBB27_86:                              ;   in Loop: Header=BB27_30 Depth=1
	s_or_b64 exec, exec, s[4:5]
	v_readfirstlane_b32 s4, v37
	v_cmp_eq_u32_e64 s[4:5], s4, v37
	v_pk_mov_b32 v[8:9], 0, 0
	s_and_saveexec_b64 s[14:15], s[4:5]
	s_cbranch_execz .LBB27_92
; %bb.87:                               ;   in Loop: Header=BB27_30 Depth=1
	global_load_dwordx2 v[26:27], v33, s[10:11] offset:24 glc
	s_waitcnt vmcnt(0)
	buffer_invl2
	buffer_wbinvl1_vol
	global_load_dwordx2 v[8:9], v33, s[10:11] offset:40
	global_load_dwordx2 v[24:25], v33, s[10:11]
	s_waitcnt vmcnt(1)
	v_and_b32_e32 v8, v8, v26
	v_and_b32_e32 v9, v9, v27
	v_mul_lo_u32 v9, v9, 24
	v_mul_hi_u32 v32, v8, 24
	v_mul_lo_u32 v8, v8, 24
	v_add_u32_e32 v9, v32, v9
	s_waitcnt vmcnt(0)
	v_add_co_u32_e64 v8, s[6:7], v24, v8
	v_addc_co_u32_e64 v9, s[6:7], v25, v9, s[6:7]
	global_load_dwordx2 v[24:25], v[8:9], off glc
	s_waitcnt vmcnt(0)
	global_atomic_cmpswap_x2 v[8:9], v33, v[24:27], s[10:11] offset:24 glc
	s_waitcnt vmcnt(0)
	buffer_invl2
	buffer_wbinvl1_vol
	v_cmp_ne_u64_e64 s[6:7], v[8:9], v[26:27]
	s_and_saveexec_b64 s[16:17], s[6:7]
	s_cbranch_execz .LBB27_91
; %bb.88:                               ;   in Loop: Header=BB27_30 Depth=1
	s_mov_b64 s[18:19], 0
.LBB27_89:                              ;   Parent Loop BB27_30 Depth=1
                                        ; =>  This Inner Loop Header: Depth=2
	s_sleep 1
	global_load_dwordx2 v[24:25], v33, s[10:11] offset:40
	global_load_dwordx2 v[34:35], v33, s[10:11]
	v_pk_mov_b32 v[26:27], v[8:9], v[8:9] op_sel:[0,1]
	s_waitcnt vmcnt(1)
	v_and_b32_e32 v8, v24, v26
	s_waitcnt vmcnt(0)
	v_mad_u64_u32 v[8:9], s[6:7], v8, 24, v[34:35]
	v_and_b32_e32 v25, v25, v27
	v_mov_b32_e32 v24, v9
	v_mad_u64_u32 v[24:25], s[6:7], v25, 24, v[24:25]
	v_mov_b32_e32 v9, v24
	global_load_dwordx2 v[24:25], v[8:9], off glc
	s_waitcnt vmcnt(0)
	global_atomic_cmpswap_x2 v[8:9], v33, v[24:27], s[10:11] offset:24 glc
	s_waitcnt vmcnt(0)
	buffer_invl2
	buffer_wbinvl1_vol
	v_cmp_eq_u64_e64 s[6:7], v[8:9], v[26:27]
	s_or_b64 s[18:19], s[6:7], s[18:19]
	s_andn2_b64 exec, exec, s[18:19]
	s_cbranch_execnz .LBB27_89
; %bb.90:                               ;   in Loop: Header=BB27_30 Depth=1
	s_or_b64 exec, exec, s[18:19]
.LBB27_91:                              ;   in Loop: Header=BB27_30 Depth=1
	s_or_b64 exec, exec, s[16:17]
.LBB27_92:                              ;   in Loop: Header=BB27_30 Depth=1
	s_or_b64 exec, exec, s[14:15]
	global_load_dwordx2 v[34:35], v33, s[10:11] offset:40
	global_load_dwordx4 v[24:27], v33, s[10:11]
	v_readfirstlane_b32 s14, v8
	v_readfirstlane_b32 s15, v9
	s_mov_b64 s[16:17], exec
	s_waitcnt vmcnt(1)
	v_readfirstlane_b32 s6, v34
	v_readfirstlane_b32 s7, v35
	s_and_b64 s[18:19], s[14:15], s[6:7]
	s_mul_i32 s6, s19, 24
	s_mul_hi_u32 s7, s18, 24
	s_mul_i32 s22, s18, 24
	s_add_i32 s6, s7, s6
	v_mov_b32_e32 v8, s6
	s_waitcnt vmcnt(0)
	v_add_co_u32_e64 v34, s[6:7], s22, v24
	v_addc_co_u32_e64 v35, s[6:7], v25, v8, s[6:7]
	s_and_saveexec_b64 s[6:7], s[4:5]
	s_cbranch_execz .LBB27_94
; %bb.93:                               ;   in Loop: Header=BB27_30 Depth=1
	v_pk_mov_b32 v[8:9], s[16:17], s[16:17] op_sel:[0,1]
	global_store_dwordx4 v[34:35], v[8:11], off offset:8
.LBB27_94:                              ;   in Loop: Header=BB27_30 Depth=1
	s_or_b64 exec, exec, s[6:7]
	s_lshl_b64 s[6:7], s[18:19], 12
	v_cndmask_b32_e32 v39, 0, v29, vcc
	v_mov_b32_e32 v9, s7
	v_add_co_u32_e32 v8, vcc, s6, v26
	v_addc_co_u32_e32 v9, vcc, v27, v9, vcc
	v_or_b32_e32 v26, 0, v1
	v_cmp_lt_u64_e32 vcc, 56, v[28:29]
	v_or_b32_e32 v27, v0, v30
	v_cndmask_b32_e32 v1, v26, v1, vcc
	v_lshl_add_u32 v26, v38, 2, 28
	v_cndmask_b32_e32 v0, v27, v0, vcc
	v_and_b32_e32 v26, 0x1e0, v26
	v_and_or_b32 v0, v0, s21, v26
	v_readfirstlane_b32 s6, v8
	v_readfirstlane_b32 s7, v9
	s_nop 4
	global_store_dwordx4 v36, v[0:3], s[6:7]
	global_store_dwordx4 v36, v[12:15], s[6:7] offset:16
	global_store_dwordx4 v36, v[16:19], s[6:7] offset:32
	;; [unrolled: 1-line block ×3, first 2 shown]
	s_and_saveexec_b64 s[6:7], s[4:5]
	s_cbranch_execz .LBB27_102
; %bb.95:                               ;   in Loop: Header=BB27_30 Depth=1
	global_load_dwordx2 v[16:17], v33, s[10:11] offset:32 glc
	global_load_dwordx2 v[0:1], v33, s[10:11] offset:40
	v_mov_b32_e32 v14, s14
	v_mov_b32_e32 v15, s15
	s_waitcnt vmcnt(0)
	v_readfirstlane_b32 s16, v0
	v_readfirstlane_b32 s17, v1
	s_and_b64 s[16:17], s[16:17], s[14:15]
	s_mul_i32 s17, s17, 24
	s_mul_hi_u32 s18, s16, 24
	s_mul_i32 s16, s16, 24
	s_add_i32 s17, s18, s17
	v_mov_b32_e32 v0, s17
	v_add_co_u32_e32 v12, vcc, s16, v24
	v_addc_co_u32_e32 v13, vcc, v25, v0, vcc
	global_store_dwordx2 v[12:13], v[16:17], off
	buffer_wbl2
	s_waitcnt vmcnt(0)
	global_atomic_cmpswap_x2 v[2:3], v33, v[14:17], s[10:11] offset:32 glc
	s_waitcnt vmcnt(0)
	v_cmp_ne_u64_e32 vcc, v[2:3], v[16:17]
	s_and_saveexec_b64 s[16:17], vcc
	s_cbranch_execz .LBB27_98
; %bb.96:                               ;   in Loop: Header=BB27_30 Depth=1
	s_mov_b64 s[18:19], 0
.LBB27_97:                              ;   Parent Loop BB27_30 Depth=1
                                        ; =>  This Inner Loop Header: Depth=2
	s_sleep 1
	global_store_dwordx2 v[12:13], v[2:3], off
	v_mov_b32_e32 v0, s14
	v_mov_b32_e32 v1, s15
	buffer_wbl2
	s_waitcnt vmcnt(0)
	global_atomic_cmpswap_x2 v[0:1], v33, v[0:3], s[10:11] offset:32 glc
	s_waitcnt vmcnt(0)
	v_cmp_eq_u64_e32 vcc, v[0:1], v[2:3]
	s_or_b64 s[18:19], vcc, s[18:19]
	v_pk_mov_b32 v[2:3], v[0:1], v[0:1] op_sel:[0,1]
	s_andn2_b64 exec, exec, s[18:19]
	s_cbranch_execnz .LBB27_97
.LBB27_98:                              ;   in Loop: Header=BB27_30 Depth=1
	s_or_b64 exec, exec, s[16:17]
	global_load_dwordx2 v[0:1], v33, s[10:11] offset:16
	s_mov_b64 s[18:19], exec
	v_mbcnt_lo_u32_b32 v2, s18, 0
	v_mbcnt_hi_u32_b32 v2, s19, v2
	v_cmp_eq_u32_e32 vcc, 0, v2
	s_and_saveexec_b64 s[16:17], vcc
	s_cbranch_execz .LBB27_100
; %bb.99:                               ;   in Loop: Header=BB27_30 Depth=1
	s_bcnt1_i32_b64 s18, s[18:19]
	v_mov_b32_e32 v32, s18
	buffer_wbl2
	s_waitcnt vmcnt(0)
	global_atomic_add_x2 v[0:1], v[32:33], off offset:8
.LBB27_100:                             ;   in Loop: Header=BB27_30 Depth=1
	s_or_b64 exec, exec, s[16:17]
	s_waitcnt vmcnt(0)
	global_load_dwordx2 v[2:3], v[0:1], off offset:16
	s_waitcnt vmcnt(0)
	v_cmp_eq_u64_e32 vcc, 0, v[2:3]
	s_cbranch_vccnz .LBB27_102
; %bb.101:                              ;   in Loop: Header=BB27_30 Depth=1
	global_load_dword v32, v[0:1], off offset:24
	s_waitcnt vmcnt(0)
	v_and_b32_e32 v0, 0xffffff, v32
	v_readfirstlane_b32 m0, v0
	buffer_wbl2
	global_store_dwordx2 v[2:3], v[32:33], off
	s_sendmsg sendmsg(MSG_INTERRUPT)
.LBB27_102:                             ;   in Loop: Header=BB27_30 Depth=1
	s_or_b64 exec, exec, s[6:7]
	v_add_co_u32_e32 v0, vcc, v8, v36
	v_addc_co_u32_e32 v1, vcc, 0, v9, vcc
	s_branch .LBB27_106
.LBB27_103:                             ;   in Loop: Header=BB27_106 Depth=2
	s_or_b64 exec, exec, s[6:7]
	v_readfirstlane_b32 s6, v2
	s_cmp_eq_u32 s6, 0
	s_cbranch_scc1 .LBB27_105
; %bb.104:                              ;   in Loop: Header=BB27_106 Depth=2
	s_sleep 1
	s_cbranch_execnz .LBB27_106
	s_branch .LBB27_108
.LBB27_105:                             ;   in Loop: Header=BB27_30 Depth=1
	s_branch .LBB27_108
.LBB27_106:                             ;   Parent Loop BB27_30 Depth=1
                                        ; =>  This Inner Loop Header: Depth=2
	v_mov_b32_e32 v2, 1
	s_and_saveexec_b64 s[6:7], s[4:5]
	s_cbranch_execz .LBB27_103
; %bb.107:                              ;   in Loop: Header=BB27_106 Depth=2
	global_load_dword v2, v[34:35], off offset:20 glc
	s_waitcnt vmcnt(0)
	buffer_invl2
	buffer_wbinvl1_vol
	v_and_b32_e32 v2, 1, v2
	s_branch .LBB27_103
.LBB27_108:                             ;   in Loop: Header=BB27_30 Depth=1
	global_load_dwordx4 v[0:3], v[0:1], off
	s_and_saveexec_b64 s[6:7], s[4:5]
	s_cbranch_execz .LBB27_29
; %bb.109:                              ;   in Loop: Header=BB27_30 Depth=1
	global_load_dwordx2 v[2:3], v33, s[10:11] offset:40
	global_load_dwordx2 v[8:9], v33, s[10:11] offset:24 glc
	global_load_dwordx2 v[16:17], v33, s[10:11]
	v_mov_b32_e32 v13, s15
	s_waitcnt vmcnt(2)
	v_add_co_u32_e32 v15, vcc, 1, v2
	v_addc_co_u32_e32 v18, vcc, 0, v3, vcc
	v_add_co_u32_e32 v12, vcc, s14, v15
	v_addc_co_u32_e32 v13, vcc, v18, v13, vcc
	v_cmp_eq_u64_e32 vcc, 0, v[12:13]
	v_cndmask_b32_e32 v13, v13, v18, vcc
	v_cndmask_b32_e32 v12, v12, v15, vcc
	v_and_b32_e32 v3, v13, v3
	v_and_b32_e32 v2, v12, v2
	v_mul_lo_u32 v3, v3, 24
	v_mul_hi_u32 v15, v2, 24
	v_mul_lo_u32 v2, v2, 24
	v_add_u32_e32 v3, v15, v3
	s_waitcnt vmcnt(0)
	v_add_co_u32_e32 v2, vcc, v16, v2
	v_addc_co_u32_e32 v3, vcc, v17, v3, vcc
	v_mov_b32_e32 v14, v8
	global_store_dwordx2 v[2:3], v[8:9], off
	v_mov_b32_e32 v15, v9
	buffer_wbl2
	s_waitcnt vmcnt(0)
	global_atomic_cmpswap_x2 v[14:15], v33, v[12:15], s[10:11] offset:24 glc
	s_waitcnt vmcnt(0)
	v_cmp_ne_u64_e32 vcc, v[14:15], v[8:9]
	s_and_b64 exec, exec, vcc
	s_cbranch_execz .LBB27_29
; %bb.110:                              ;   in Loop: Header=BB27_30 Depth=1
	s_mov_b64 s[4:5], 0
.LBB27_111:                             ;   Parent Loop BB27_30 Depth=1
                                        ; =>  This Inner Loop Header: Depth=2
	s_sleep 1
	global_store_dwordx2 v[2:3], v[14:15], off
	buffer_wbl2
	s_waitcnt vmcnt(0)
	global_atomic_cmpswap_x2 v[8:9], v33, v[12:15], s[10:11] offset:24 glc
	s_waitcnt vmcnt(0)
	v_cmp_eq_u64_e32 vcc, v[8:9], v[14:15]
	s_or_b64 s[4:5], vcc, s[4:5]
	v_pk_mov_b32 v[14:15], v[8:9], v[8:9] op_sel:[0,1]
	s_andn2_b64 exec, exec, s[4:5]
	s_cbranch_execnz .LBB27_111
	s_branch .LBB27_29
.LBB27_112:
                                        ; implicit-def: $vgpr0_vgpr1
	s_cbranch_execnz .LBB27_114
	s_branch .LBB27_140
.LBB27_113:
	s_or_b64 exec, exec, s[12:13]
	s_branch .LBB27_140
.LBB27_114:
	v_readfirstlane_b32 s4, v37
	v_cmp_eq_u32_e64 s[4:5], s4, v37
	v_pk_mov_b32 v[10:11], 0, 0
	s_and_saveexec_b64 s[6:7], s[4:5]
	s_cbranch_execz .LBB27_120
; %bb.115:
	s_waitcnt vmcnt(0)
	v_mov_b32_e32 v0, 0
	global_load_dwordx2 v[12:13], v0, s[10:11] offset:24 glc
	s_waitcnt vmcnt(0)
	buffer_invl2
	buffer_wbinvl1_vol
	global_load_dwordx2 v[2:3], v0, s[10:11] offset:40
	global_load_dwordx2 v[8:9], v0, s[10:11]
	s_waitcnt vmcnt(1)
	v_and_b32_e32 v1, v2, v12
	v_and_b32_e32 v2, v3, v13
	v_mul_lo_u32 v2, v2, 24
	v_mul_hi_u32 v3, v1, 24
	v_mul_lo_u32 v1, v1, 24
	v_add_u32_e32 v3, v3, v2
	s_waitcnt vmcnt(0)
	v_add_co_u32_e32 v2, vcc, v8, v1
	v_addc_co_u32_e32 v3, vcc, v9, v3, vcc
	global_load_dwordx2 v[10:11], v[2:3], off glc
	s_waitcnt vmcnt(0)
	global_atomic_cmpswap_x2 v[10:11], v0, v[10:13], s[10:11] offset:24 glc
	s_waitcnt vmcnt(0)
	buffer_invl2
	buffer_wbinvl1_vol
	v_cmp_ne_u64_e32 vcc, v[10:11], v[12:13]
	s_and_saveexec_b64 s[12:13], vcc
	s_cbranch_execz .LBB27_119
; %bb.116:
	s_mov_b64 s[14:15], 0
.LBB27_117:                             ; =>This Inner Loop Header: Depth=1
	s_sleep 1
	global_load_dwordx2 v[2:3], v0, s[10:11] offset:40
	global_load_dwordx2 v[8:9], v0, s[10:11]
	v_pk_mov_b32 v[12:13], v[10:11], v[10:11] op_sel:[0,1]
	s_waitcnt vmcnt(1)
	v_and_b32_e32 v2, v2, v12
	v_and_b32_e32 v1, v3, v13
	s_waitcnt vmcnt(0)
	v_mad_u64_u32 v[2:3], s[16:17], v2, 24, v[8:9]
	v_mov_b32_e32 v8, v3
	v_mad_u64_u32 v[8:9], s[16:17], v1, 24, v[8:9]
	v_mov_b32_e32 v3, v8
	global_load_dwordx2 v[10:11], v[2:3], off glc
	s_waitcnt vmcnt(0)
	global_atomic_cmpswap_x2 v[10:11], v0, v[10:13], s[10:11] offset:24 glc
	s_waitcnt vmcnt(0)
	buffer_invl2
	buffer_wbinvl1_vol
	v_cmp_eq_u64_e32 vcc, v[10:11], v[12:13]
	s_or_b64 s[14:15], vcc, s[14:15]
	s_andn2_b64 exec, exec, s[14:15]
	s_cbranch_execnz .LBB27_117
; %bb.118:
	s_or_b64 exec, exec, s[14:15]
.LBB27_119:
	s_or_b64 exec, exec, s[12:13]
.LBB27_120:
	s_or_b64 exec, exec, s[6:7]
	v_mov_b32_e32 v8, 0
	global_load_dwordx2 v[12:13], v8, s[10:11] offset:40
	global_load_dwordx4 v[0:3], v8, s[10:11]
	v_readfirstlane_b32 s6, v10
	v_readfirstlane_b32 s7, v11
	s_mov_b64 s[12:13], exec
	s_waitcnt vmcnt(1)
	v_readfirstlane_b32 s14, v12
	v_readfirstlane_b32 s15, v13
	s_and_b64 s[14:15], s[6:7], s[14:15]
	s_mul_i32 s16, s15, 24
	s_mul_hi_u32 s17, s14, 24
	s_mul_i32 s18, s14, 24
	s_add_i32 s16, s17, s16
	v_mov_b32_e32 v9, s16
	s_waitcnt vmcnt(0)
	v_add_co_u32_e32 v10, vcc, s18, v0
	v_addc_co_u32_e32 v11, vcc, v1, v9, vcc
	s_and_saveexec_b64 s[16:17], s[4:5]
	s_cbranch_execz .LBB27_122
; %bb.121:
	v_pk_mov_b32 v[12:13], s[12:13], s[12:13] op_sel:[0,1]
	v_mov_b32_e32 v14, 2
	v_mov_b32_e32 v15, 1
	global_store_dwordx4 v[10:11], v[12:15], off offset:8
.LBB27_122:
	s_or_b64 exec, exec, s[16:17]
	s_lshl_b64 s[12:13], s[14:15], 12
	v_mov_b32_e32 v9, s13
	v_add_co_u32_e32 v2, vcc, s12, v2
	s_movk_i32 s12, 0xff1f
	v_addc_co_u32_e32 v3, vcc, v3, v9, vcc
	v_and_or_b32 v6, v6, s12, 32
	s_mov_b32 s12, 0
	v_mov_b32_e32 v9, v8
	v_readfirstlane_b32 s16, v2
	v_readfirstlane_b32 s17, v3
	s_mov_b32 s13, s12
	v_add_co_u32_e32 v12, vcc, v2, v36
	s_mov_b32 s14, s12
	s_mov_b32 s15, s12
	s_nop 0
	global_store_dwordx4 v36, v[6:9], s[16:17]
	v_addc_co_u32_e32 v13, vcc, 0, v3, vcc
	v_pk_mov_b32 v[6:7], s[12:13], s[12:13] op_sel:[0,1]
	v_pk_mov_b32 v[8:9], s[14:15], s[14:15] op_sel:[0,1]
	global_store_dwordx4 v36, v[6:9], s[16:17] offset:16
	global_store_dwordx4 v36, v[6:9], s[16:17] offset:32
	global_store_dwordx4 v36, v[6:9], s[16:17] offset:48
	s_and_saveexec_b64 s[12:13], s[4:5]
	s_cbranch_execz .LBB27_130
; %bb.123:
	v_mov_b32_e32 v8, 0
	global_load_dwordx2 v[16:17], v8, s[10:11] offset:32 glc
	global_load_dwordx2 v[2:3], v8, s[10:11] offset:40
	v_mov_b32_e32 v14, s6
	v_mov_b32_e32 v15, s7
	s_waitcnt vmcnt(0)
	v_readfirstlane_b32 s14, v2
	v_readfirstlane_b32 s15, v3
	s_and_b64 s[14:15], s[14:15], s[6:7]
	s_mul_i32 s15, s15, 24
	s_mul_hi_u32 s16, s14, 24
	s_mul_i32 s14, s14, 24
	s_add_i32 s15, s16, s15
	v_mov_b32_e32 v2, s15
	v_add_co_u32_e32 v6, vcc, s14, v0
	v_addc_co_u32_e32 v7, vcc, v1, v2, vcc
	global_store_dwordx2 v[6:7], v[16:17], off
	buffer_wbl2
	s_waitcnt vmcnt(0)
	global_atomic_cmpswap_x2 v[2:3], v8, v[14:17], s[10:11] offset:32 glc
	s_waitcnt vmcnt(0)
	v_cmp_ne_u64_e32 vcc, v[2:3], v[16:17]
	s_and_saveexec_b64 s[14:15], vcc
	s_cbranch_execz .LBB27_126
; %bb.124:
	s_mov_b64 s[16:17], 0
.LBB27_125:                             ; =>This Inner Loop Header: Depth=1
	s_sleep 1
	global_store_dwordx2 v[6:7], v[2:3], off
	v_mov_b32_e32 v0, s6
	v_mov_b32_e32 v1, s7
	buffer_wbl2
	s_waitcnt vmcnt(0)
	global_atomic_cmpswap_x2 v[0:1], v8, v[0:3], s[10:11] offset:32 glc
	s_waitcnt vmcnt(0)
	v_cmp_eq_u64_e32 vcc, v[0:1], v[2:3]
	s_or_b64 s[16:17], vcc, s[16:17]
	v_pk_mov_b32 v[2:3], v[0:1], v[0:1] op_sel:[0,1]
	s_andn2_b64 exec, exec, s[16:17]
	s_cbranch_execnz .LBB27_125
.LBB27_126:
	s_or_b64 exec, exec, s[14:15]
	v_mov_b32_e32 v3, 0
	global_load_dwordx2 v[0:1], v3, s[10:11] offset:16
	s_mov_b64 s[14:15], exec
	v_mbcnt_lo_u32_b32 v2, s14, 0
	v_mbcnt_hi_u32_b32 v2, s15, v2
	v_cmp_eq_u32_e32 vcc, 0, v2
	s_and_saveexec_b64 s[16:17], vcc
	s_cbranch_execz .LBB27_128
; %bb.127:
	s_bcnt1_i32_b64 s14, s[14:15]
	v_mov_b32_e32 v2, s14
	buffer_wbl2
	s_waitcnt vmcnt(0)
	global_atomic_add_x2 v[0:1], v[2:3], off offset:8
.LBB27_128:
	s_or_b64 exec, exec, s[16:17]
	s_waitcnt vmcnt(0)
	global_load_dwordx2 v[2:3], v[0:1], off offset:16
	s_waitcnt vmcnt(0)
	v_cmp_eq_u64_e32 vcc, 0, v[2:3]
	s_cbranch_vccnz .LBB27_130
; %bb.129:
	global_load_dword v0, v[0:1], off offset:24
	v_mov_b32_e32 v1, 0
	buffer_wbl2
	s_waitcnt vmcnt(0)
	global_store_dwordx2 v[2:3], v[0:1], off
	v_and_b32_e32 v0, 0xffffff, v0
	v_readfirstlane_b32 m0, v0
	s_sendmsg sendmsg(MSG_INTERRUPT)
.LBB27_130:
	s_or_b64 exec, exec, s[12:13]
	s_branch .LBB27_134
.LBB27_131:                             ;   in Loop: Header=BB27_134 Depth=1
	s_or_b64 exec, exec, s[12:13]
	v_readfirstlane_b32 s12, v0
	s_cmp_eq_u32 s12, 0
	s_cbranch_scc1 .LBB27_133
; %bb.132:                              ;   in Loop: Header=BB27_134 Depth=1
	s_sleep 1
	s_cbranch_execnz .LBB27_134
	s_branch .LBB27_136
.LBB27_133:
	s_branch .LBB27_136
.LBB27_134:                             ; =>This Inner Loop Header: Depth=1
	v_mov_b32_e32 v0, 1
	s_and_saveexec_b64 s[12:13], s[4:5]
	s_cbranch_execz .LBB27_131
; %bb.135:                              ;   in Loop: Header=BB27_134 Depth=1
	global_load_dword v0, v[10:11], off offset:20 glc
	s_waitcnt vmcnt(0)
	buffer_invl2
	buffer_wbinvl1_vol
	v_and_b32_e32 v0, 1, v0
	s_branch .LBB27_131
.LBB27_136:
	global_load_dwordx2 v[0:1], v[12:13], off
	s_and_saveexec_b64 s[12:13], s[4:5]
	s_cbranch_execz .LBB27_139
; %bb.137:
	v_mov_b32_e32 v10, 0
	global_load_dwordx2 v[2:3], v10, s[10:11] offset:40
	global_load_dwordx2 v[12:13], v10, s[10:11] offset:24 glc
	global_load_dwordx2 v[14:15], v10, s[10:11]
	v_mov_b32_e32 v7, s7
	s_mov_b64 s[4:5], 0
	s_waitcnt vmcnt(2)
	v_add_co_u32_e32 v9, vcc, 1, v2
	v_addc_co_u32_e32 v11, vcc, 0, v3, vcc
	v_add_co_u32_e32 v6, vcc, s6, v9
	v_addc_co_u32_e32 v7, vcc, v11, v7, vcc
	v_cmp_eq_u64_e32 vcc, 0, v[6:7]
	v_cndmask_b32_e32 v7, v7, v11, vcc
	v_cndmask_b32_e32 v6, v6, v9, vcc
	v_and_b32_e32 v3, v7, v3
	v_and_b32_e32 v2, v6, v2
	v_mul_lo_u32 v3, v3, 24
	v_mul_hi_u32 v9, v2, 24
	v_mul_lo_u32 v2, v2, 24
	v_add_u32_e32 v3, v9, v3
	s_waitcnt vmcnt(0)
	v_add_co_u32_e32 v2, vcc, v14, v2
	v_addc_co_u32_e32 v3, vcc, v15, v3, vcc
	v_mov_b32_e32 v8, v12
	global_store_dwordx2 v[2:3], v[12:13], off
	v_mov_b32_e32 v9, v13
	buffer_wbl2
	s_waitcnt vmcnt(0)
	global_atomic_cmpswap_x2 v[8:9], v10, v[6:9], s[10:11] offset:24 glc
	s_waitcnt vmcnt(0)
	v_cmp_ne_u64_e32 vcc, v[8:9], v[12:13]
	s_and_b64 exec, exec, vcc
	s_cbranch_execz .LBB27_139
.LBB27_138:                             ; =>This Inner Loop Header: Depth=1
	s_sleep 1
	global_store_dwordx2 v[2:3], v[8:9], off
	buffer_wbl2
	s_waitcnt vmcnt(0)
	global_atomic_cmpswap_x2 v[12:13], v10, v[6:9], s[10:11] offset:24 glc
	s_waitcnt vmcnt(0)
	v_cmp_eq_u64_e32 vcc, v[12:13], v[8:9]
	s_or_b64 s[4:5], vcc, s[4:5]
	v_pk_mov_b32 v[8:9], v[12:13], v[12:13] op_sel:[0,1]
	s_andn2_b64 exec, exec, s[4:5]
	s_cbranch_execnz .LBB27_138
.LBB27_139:
	s_or_b64 exec, exec, s[12:13]
.LBB27_140:
	s_getpc_b64 s[6:7]
	s_add_u32 s6, s6, .str.1@rel32@lo+4
	s_addc_u32 s7, s7, .str.1@rel32@hi+12
	s_cmp_lg_u64 s[6:7], 0
	s_cbranch_scc0 .LBB27_224
; %bb.141:
	s_getpc_b64 s[4:5]
	s_add_u32 s4, s4, .str.1@rel32@lo+93
	s_addc_u32 s5, s5, .str.1@rel32@hi+101
	s_sub_i32 s12, s4, s6
	s_ashr_i32 s13, s12, 31
	s_waitcnt vmcnt(0)
	v_and_b32_e32 v2, 2, v0
	v_mov_b32_e32 v33, 0
	v_and_b32_e32 v6, -3, v0
	v_mov_b32_e32 v7, v1
	v_mov_b32_e32 v10, 2
	;; [unrolled: 1-line block ×3, first 2 shown]
	s_branch .LBB27_143
.LBB27_142:                             ;   in Loop: Header=BB27_143 Depth=1
	s_or_b64 exec, exec, s[18:19]
	s_sub_u32 s12, s12, s14
	s_subb_u32 s13, s13, s15
	s_add_u32 s6, s6, s14
	s_addc_u32 s7, s7, s15
	s_cmp_lg_u64 s[12:13], 0
	s_cbranch_scc0 .LBB27_225
.LBB27_143:                             ; =>This Loop Header: Depth=1
                                        ;     Child Loop BB27_146 Depth 2
                                        ;     Child Loop BB27_153 Depth 2
	;; [unrolled: 1-line block ×11, first 2 shown]
	v_cmp_lt_u64_e64 s[4:5], s[12:13], 56
	s_and_b64 s[4:5], s[4:5], exec
	v_cmp_gt_u64_e64 s[4:5], s[12:13], 7
	s_cselect_b32 s15, s13, 0
	s_cselect_b32 s14, s12, 56
	s_and_b64 vcc, exec, s[4:5]
	s_cbranch_vccnz .LBB27_148
; %bb.144:                              ;   in Loop: Header=BB27_143 Depth=1
	s_mov_b64 s[4:5], 0
	s_cmp_eq_u64 s[12:13], 0
	v_pk_mov_b32 v[14:15], 0, 0
	s_cbranch_scc1 .LBB27_147
; %bb.145:                              ;   in Loop: Header=BB27_143 Depth=1
	s_lshl_b64 s[16:17], s[14:15], 3
	s_mov_b64 s[18:19], 0
	v_pk_mov_b32 v[14:15], 0, 0
	s_mov_b64 s[20:21], s[6:7]
.LBB27_146:                             ;   Parent Loop BB27_143 Depth=1
                                        ; =>  This Inner Loop Header: Depth=2
	global_load_ubyte v3, v33, s[20:21]
	s_waitcnt vmcnt(0)
	v_and_b32_e32 v32, 0xffff, v3
	v_lshlrev_b64 v[8:9], s18, v[32:33]
	s_add_u32 s18, s18, 8
	s_addc_u32 s19, s19, 0
	s_add_u32 s20, s20, 1
	s_addc_u32 s21, s21, 0
	v_or_b32_e32 v14, v8, v14
	s_cmp_lg_u32 s16, s18
	v_or_b32_e32 v15, v9, v15
	s_cbranch_scc1 .LBB27_146
.LBB27_147:                             ;   in Loop: Header=BB27_143 Depth=1
	s_mov_b32 s20, 0
	s_andn2_b64 vcc, exec, s[4:5]
	s_mov_b64 s[4:5], s[6:7]
	s_cbranch_vccz .LBB27_149
	s_branch .LBB27_150
.LBB27_148:                             ;   in Loop: Header=BB27_143 Depth=1
                                        ; implicit-def: $vgpr14_vgpr15
                                        ; implicit-def: $sgpr20
	s_mov_b64 s[4:5], s[6:7]
.LBB27_149:                             ;   in Loop: Header=BB27_143 Depth=1
	global_load_dwordx2 v[14:15], v33, s[6:7]
	s_add_i32 s20, s14, -8
	s_add_u32 s4, s6, 8
	s_addc_u32 s5, s7, 0
.LBB27_150:                             ;   in Loop: Header=BB27_143 Depth=1
	s_cmp_gt_u32 s20, 7
	s_cbranch_scc1 .LBB27_154
; %bb.151:                              ;   in Loop: Header=BB27_143 Depth=1
	s_cmp_eq_u32 s20, 0
	s_cbranch_scc1 .LBB27_155
; %bb.152:                              ;   in Loop: Header=BB27_143 Depth=1
	s_mov_b64 s[16:17], 0
	v_pk_mov_b32 v[16:17], 0, 0
	s_mov_b64 s[18:19], 0
.LBB27_153:                             ;   Parent Loop BB27_143 Depth=1
                                        ; =>  This Inner Loop Header: Depth=2
	s_add_u32 s22, s4, s18
	s_addc_u32 s23, s5, s19
	global_load_ubyte v3, v33, s[22:23]
	s_add_u32 s18, s18, 1
	s_addc_u32 s19, s19, 0
	s_waitcnt vmcnt(0)
	v_and_b32_e32 v32, 0xffff, v3
	v_lshlrev_b64 v[8:9], s16, v[32:33]
	s_add_u32 s16, s16, 8
	s_addc_u32 s17, s17, 0
	v_or_b32_e32 v16, v8, v16
	s_cmp_lg_u32 s20, s18
	v_or_b32_e32 v17, v9, v17
	s_cbranch_scc1 .LBB27_153
	s_branch .LBB27_156
.LBB27_154:                             ;   in Loop: Header=BB27_143 Depth=1
                                        ; implicit-def: $vgpr16_vgpr17
                                        ; implicit-def: $sgpr21
	s_branch .LBB27_157
.LBB27_155:                             ;   in Loop: Header=BB27_143 Depth=1
	v_pk_mov_b32 v[16:17], 0, 0
.LBB27_156:                             ;   in Loop: Header=BB27_143 Depth=1
	s_mov_b32 s21, 0
	s_cbranch_execnz .LBB27_158
.LBB27_157:                             ;   in Loop: Header=BB27_143 Depth=1
	global_load_dwordx2 v[16:17], v33, s[4:5]
	s_add_i32 s21, s20, -8
	s_add_u32 s4, s4, 8
	s_addc_u32 s5, s5, 0
.LBB27_158:                             ;   in Loop: Header=BB27_143 Depth=1
	s_cmp_gt_u32 s21, 7
	s_cbranch_scc1 .LBB27_162
; %bb.159:                              ;   in Loop: Header=BB27_143 Depth=1
	s_cmp_eq_u32 s21, 0
	s_cbranch_scc1 .LBB27_163
; %bb.160:                              ;   in Loop: Header=BB27_143 Depth=1
	s_mov_b64 s[16:17], 0
	v_pk_mov_b32 v[18:19], 0, 0
	s_mov_b64 s[18:19], 0
.LBB27_161:                             ;   Parent Loop BB27_143 Depth=1
                                        ; =>  This Inner Loop Header: Depth=2
	s_add_u32 s22, s4, s18
	s_addc_u32 s23, s5, s19
	global_load_ubyte v3, v33, s[22:23]
	s_add_u32 s18, s18, 1
	s_addc_u32 s19, s19, 0
	s_waitcnt vmcnt(0)
	v_and_b32_e32 v32, 0xffff, v3
	v_lshlrev_b64 v[8:9], s16, v[32:33]
	s_add_u32 s16, s16, 8
	s_addc_u32 s17, s17, 0
	v_or_b32_e32 v18, v8, v18
	s_cmp_lg_u32 s21, s18
	v_or_b32_e32 v19, v9, v19
	s_cbranch_scc1 .LBB27_161
	s_branch .LBB27_164
.LBB27_162:                             ;   in Loop: Header=BB27_143 Depth=1
                                        ; implicit-def: $sgpr20
	s_branch .LBB27_165
.LBB27_163:                             ;   in Loop: Header=BB27_143 Depth=1
	v_pk_mov_b32 v[18:19], 0, 0
.LBB27_164:                             ;   in Loop: Header=BB27_143 Depth=1
	s_mov_b32 s20, 0
	s_cbranch_execnz .LBB27_166
.LBB27_165:                             ;   in Loop: Header=BB27_143 Depth=1
	global_load_dwordx2 v[18:19], v33, s[4:5]
	s_add_i32 s20, s21, -8
	s_add_u32 s4, s4, 8
	s_addc_u32 s5, s5, 0
.LBB27_166:                             ;   in Loop: Header=BB27_143 Depth=1
	s_cmp_gt_u32 s20, 7
	s_cbranch_scc1 .LBB27_170
; %bb.167:                              ;   in Loop: Header=BB27_143 Depth=1
	s_cmp_eq_u32 s20, 0
	s_cbranch_scc1 .LBB27_171
; %bb.168:                              ;   in Loop: Header=BB27_143 Depth=1
	s_mov_b64 s[16:17], 0
	v_pk_mov_b32 v[20:21], 0, 0
	s_mov_b64 s[18:19], 0
.LBB27_169:                             ;   Parent Loop BB27_143 Depth=1
                                        ; =>  This Inner Loop Header: Depth=2
	s_add_u32 s22, s4, s18
	s_addc_u32 s23, s5, s19
	global_load_ubyte v3, v33, s[22:23]
	s_add_u32 s18, s18, 1
	s_addc_u32 s19, s19, 0
	s_waitcnt vmcnt(0)
	v_and_b32_e32 v32, 0xffff, v3
	v_lshlrev_b64 v[8:9], s16, v[32:33]
	s_add_u32 s16, s16, 8
	s_addc_u32 s17, s17, 0
	v_or_b32_e32 v20, v8, v20
	s_cmp_lg_u32 s20, s18
	v_or_b32_e32 v21, v9, v21
	s_cbranch_scc1 .LBB27_169
	s_branch .LBB27_172
.LBB27_170:                             ;   in Loop: Header=BB27_143 Depth=1
                                        ; implicit-def: $vgpr20_vgpr21
                                        ; implicit-def: $sgpr21
	s_branch .LBB27_173
.LBB27_171:                             ;   in Loop: Header=BB27_143 Depth=1
	v_pk_mov_b32 v[20:21], 0, 0
.LBB27_172:                             ;   in Loop: Header=BB27_143 Depth=1
	s_mov_b32 s21, 0
	s_cbranch_execnz .LBB27_174
.LBB27_173:                             ;   in Loop: Header=BB27_143 Depth=1
	global_load_dwordx2 v[20:21], v33, s[4:5]
	s_add_i32 s21, s20, -8
	s_add_u32 s4, s4, 8
	s_addc_u32 s5, s5, 0
.LBB27_174:                             ;   in Loop: Header=BB27_143 Depth=1
	s_cmp_gt_u32 s21, 7
	s_cbranch_scc1 .LBB27_178
; %bb.175:                              ;   in Loop: Header=BB27_143 Depth=1
	s_cmp_eq_u32 s21, 0
	s_cbranch_scc1 .LBB27_179
; %bb.176:                              ;   in Loop: Header=BB27_143 Depth=1
	s_mov_b64 s[16:17], 0
	v_pk_mov_b32 v[22:23], 0, 0
	s_mov_b64 s[18:19], 0
.LBB27_177:                             ;   Parent Loop BB27_143 Depth=1
                                        ; =>  This Inner Loop Header: Depth=2
	s_add_u32 s22, s4, s18
	s_addc_u32 s23, s5, s19
	global_load_ubyte v3, v33, s[22:23]
	s_add_u32 s18, s18, 1
	s_addc_u32 s19, s19, 0
	s_waitcnt vmcnt(0)
	v_and_b32_e32 v32, 0xffff, v3
	v_lshlrev_b64 v[8:9], s16, v[32:33]
	s_add_u32 s16, s16, 8
	s_addc_u32 s17, s17, 0
	v_or_b32_e32 v22, v8, v22
	s_cmp_lg_u32 s21, s18
	v_or_b32_e32 v23, v9, v23
	s_cbranch_scc1 .LBB27_177
	s_branch .LBB27_180
.LBB27_178:                             ;   in Loop: Header=BB27_143 Depth=1
                                        ; implicit-def: $sgpr20
	s_branch .LBB27_181
.LBB27_179:                             ;   in Loop: Header=BB27_143 Depth=1
	v_pk_mov_b32 v[22:23], 0, 0
.LBB27_180:                             ;   in Loop: Header=BB27_143 Depth=1
	s_mov_b32 s20, 0
	s_cbranch_execnz .LBB27_182
.LBB27_181:                             ;   in Loop: Header=BB27_143 Depth=1
	global_load_dwordx2 v[22:23], v33, s[4:5]
	s_add_i32 s20, s21, -8
	s_add_u32 s4, s4, 8
	s_addc_u32 s5, s5, 0
.LBB27_182:                             ;   in Loop: Header=BB27_143 Depth=1
	s_cmp_gt_u32 s20, 7
	s_cbranch_scc1 .LBB27_186
; %bb.183:                              ;   in Loop: Header=BB27_143 Depth=1
	s_cmp_eq_u32 s20, 0
	s_cbranch_scc1 .LBB27_187
; %bb.184:                              ;   in Loop: Header=BB27_143 Depth=1
	s_mov_b64 s[16:17], 0
	v_pk_mov_b32 v[24:25], 0, 0
	s_mov_b64 s[18:19], 0
.LBB27_185:                             ;   Parent Loop BB27_143 Depth=1
                                        ; =>  This Inner Loop Header: Depth=2
	s_add_u32 s22, s4, s18
	s_addc_u32 s23, s5, s19
	global_load_ubyte v3, v33, s[22:23]
	s_add_u32 s18, s18, 1
	s_addc_u32 s19, s19, 0
	s_waitcnt vmcnt(0)
	v_and_b32_e32 v32, 0xffff, v3
	v_lshlrev_b64 v[8:9], s16, v[32:33]
	s_add_u32 s16, s16, 8
	s_addc_u32 s17, s17, 0
	v_or_b32_e32 v24, v8, v24
	s_cmp_lg_u32 s20, s18
	v_or_b32_e32 v25, v9, v25
	s_cbranch_scc1 .LBB27_185
	s_branch .LBB27_188
.LBB27_186:                             ;   in Loop: Header=BB27_143 Depth=1
                                        ; implicit-def: $vgpr24_vgpr25
                                        ; implicit-def: $sgpr21
	s_branch .LBB27_189
.LBB27_187:                             ;   in Loop: Header=BB27_143 Depth=1
	v_pk_mov_b32 v[24:25], 0, 0
.LBB27_188:                             ;   in Loop: Header=BB27_143 Depth=1
	s_mov_b32 s21, 0
	s_cbranch_execnz .LBB27_190
.LBB27_189:                             ;   in Loop: Header=BB27_143 Depth=1
	global_load_dwordx2 v[24:25], v33, s[4:5]
	s_add_i32 s21, s20, -8
	s_add_u32 s4, s4, 8
	s_addc_u32 s5, s5, 0
.LBB27_190:                             ;   in Loop: Header=BB27_143 Depth=1
	s_cmp_gt_u32 s21, 7
	s_cbranch_scc1 .LBB27_194
; %bb.191:                              ;   in Loop: Header=BB27_143 Depth=1
	s_cmp_eq_u32 s21, 0
	s_cbranch_scc1 .LBB27_195
; %bb.192:                              ;   in Loop: Header=BB27_143 Depth=1
	s_mov_b64 s[16:17], 0
	v_pk_mov_b32 v[26:27], 0, 0
	s_mov_b64 s[18:19], s[4:5]
.LBB27_193:                             ;   Parent Loop BB27_143 Depth=1
                                        ; =>  This Inner Loop Header: Depth=2
	global_load_ubyte v3, v33, s[18:19]
	s_add_i32 s21, s21, -1
	s_waitcnt vmcnt(0)
	v_and_b32_e32 v32, 0xffff, v3
	v_lshlrev_b64 v[8:9], s16, v[32:33]
	s_add_u32 s16, s16, 8
	s_addc_u32 s17, s17, 0
	s_add_u32 s18, s18, 1
	s_addc_u32 s19, s19, 0
	v_or_b32_e32 v26, v8, v26
	s_cmp_lg_u32 s21, 0
	v_or_b32_e32 v27, v9, v27
	s_cbranch_scc1 .LBB27_193
	s_branch .LBB27_196
.LBB27_194:                             ;   in Loop: Header=BB27_143 Depth=1
	s_branch .LBB27_197
.LBB27_195:                             ;   in Loop: Header=BB27_143 Depth=1
	v_pk_mov_b32 v[26:27], 0, 0
.LBB27_196:                             ;   in Loop: Header=BB27_143 Depth=1
	s_cbranch_execnz .LBB27_198
.LBB27_197:                             ;   in Loop: Header=BB27_143 Depth=1
	global_load_dwordx2 v[26:27], v33, s[4:5]
.LBB27_198:                             ;   in Loop: Header=BB27_143 Depth=1
	v_readfirstlane_b32 s4, v37
	v_cmp_eq_u32_e64 s[4:5], s4, v37
	s_waitcnt vmcnt(0)
	v_pk_mov_b32 v[8:9], 0, 0
	s_and_saveexec_b64 s[16:17], s[4:5]
	s_cbranch_execz .LBB27_204
; %bb.199:                              ;   in Loop: Header=BB27_143 Depth=1
	global_load_dwordx2 v[30:31], v33, s[10:11] offset:24 glc
	s_waitcnt vmcnt(0)
	buffer_invl2
	buffer_wbinvl1_vol
	global_load_dwordx2 v[8:9], v33, s[10:11] offset:40
	global_load_dwordx2 v[12:13], v33, s[10:11]
	s_waitcnt vmcnt(1)
	v_and_b32_e32 v3, v8, v30
	v_and_b32_e32 v8, v9, v31
	v_mul_lo_u32 v8, v8, 24
	v_mul_hi_u32 v9, v3, 24
	v_mul_lo_u32 v3, v3, 24
	v_add_u32_e32 v9, v9, v8
	s_waitcnt vmcnt(0)
	v_add_co_u32_e32 v8, vcc, v12, v3
	v_addc_co_u32_e32 v9, vcc, v13, v9, vcc
	global_load_dwordx2 v[28:29], v[8:9], off glc
	s_waitcnt vmcnt(0)
	global_atomic_cmpswap_x2 v[8:9], v33, v[28:31], s[10:11] offset:24 glc
	s_waitcnt vmcnt(0)
	buffer_invl2
	buffer_wbinvl1_vol
	v_cmp_ne_u64_e32 vcc, v[8:9], v[30:31]
	s_and_saveexec_b64 s[18:19], vcc
	s_cbranch_execz .LBB27_203
; %bb.200:                              ;   in Loop: Header=BB27_143 Depth=1
	s_mov_b64 s[20:21], 0
.LBB27_201:                             ;   Parent Loop BB27_143 Depth=1
                                        ; =>  This Inner Loop Header: Depth=2
	s_sleep 1
	global_load_dwordx2 v[12:13], v33, s[10:11] offset:40
	global_load_dwordx2 v[28:29], v33, s[10:11]
	v_pk_mov_b32 v[30:31], v[8:9], v[8:9] op_sel:[0,1]
	s_waitcnt vmcnt(1)
	v_and_b32_e32 v8, v12, v30
	s_waitcnt vmcnt(0)
	v_mad_u64_u32 v[8:9], s[22:23], v8, 24, v[28:29]
	v_and_b32_e32 v3, v13, v31
	v_mov_b32_e32 v12, v9
	v_mad_u64_u32 v[12:13], s[22:23], v3, 24, v[12:13]
	v_mov_b32_e32 v9, v12
	global_load_dwordx2 v[28:29], v[8:9], off glc
	s_waitcnt vmcnt(0)
	global_atomic_cmpswap_x2 v[8:9], v33, v[28:31], s[10:11] offset:24 glc
	s_waitcnt vmcnt(0)
	buffer_invl2
	buffer_wbinvl1_vol
	v_cmp_eq_u64_e32 vcc, v[8:9], v[30:31]
	s_or_b64 s[20:21], vcc, s[20:21]
	s_andn2_b64 exec, exec, s[20:21]
	s_cbranch_execnz .LBB27_201
; %bb.202:                              ;   in Loop: Header=BB27_143 Depth=1
	s_or_b64 exec, exec, s[20:21]
.LBB27_203:                             ;   in Loop: Header=BB27_143 Depth=1
	s_or_b64 exec, exec, s[18:19]
.LBB27_204:                             ;   in Loop: Header=BB27_143 Depth=1
	s_or_b64 exec, exec, s[16:17]
	global_load_dwordx2 v[12:13], v33, s[10:11] offset:40
	global_load_dwordx4 v[28:31], v33, s[10:11]
	v_readfirstlane_b32 s16, v8
	v_readfirstlane_b32 s17, v9
	s_mov_b64 s[18:19], exec
	s_waitcnt vmcnt(1)
	v_readfirstlane_b32 s20, v12
	v_readfirstlane_b32 s21, v13
	s_and_b64 s[20:21], s[16:17], s[20:21]
	s_mul_i32 s22, s21, 24
	s_mul_hi_u32 s23, s20, 24
	s_mul_i32 s24, s20, 24
	s_add_i32 s22, s23, s22
	v_mov_b32_e32 v3, s22
	s_waitcnt vmcnt(0)
	v_add_co_u32_e32 v34, vcc, s24, v28
	v_addc_co_u32_e32 v35, vcc, v29, v3, vcc
	s_and_saveexec_b64 s[22:23], s[4:5]
	s_cbranch_execz .LBB27_206
; %bb.205:                              ;   in Loop: Header=BB27_143 Depth=1
	v_pk_mov_b32 v[8:9], s[18:19], s[18:19] op_sel:[0,1]
	global_store_dwordx4 v[34:35], v[8:11], off offset:8
.LBB27_206:                             ;   in Loop: Header=BB27_143 Depth=1
	s_or_b64 exec, exec, s[22:23]
	s_lshl_b64 s[18:19], s[20:21], 12
	v_mov_b32_e32 v3, s19
	v_add_co_u32_e32 v30, vcc, s18, v30
	v_addc_co_u32_e32 v3, vcc, v31, v3, vcc
	v_or_b32_e32 v9, v6, v2
	v_cmp_gt_u64_e64 vcc, s[12:13], 56
	s_lshl_b32 s18, s14, 2
	v_cndmask_b32_e32 v6, v9, v6, vcc
	s_add_i32 s18, s18, 28
	v_or_b32_e32 v8, 0, v7
	s_and_b32 s18, s18, 0x1e0
	v_and_b32_e32 v6, 0xffffff1f, v6
	v_cndmask_b32_e32 v13, v8, v7, vcc
	v_or_b32_e32 v12, s18, v6
	v_readfirstlane_b32 s18, v30
	v_readfirstlane_b32 s19, v3
	s_nop 4
	global_store_dwordx4 v36, v[12:15], s[18:19]
	global_store_dwordx4 v36, v[16:19], s[18:19] offset:16
	global_store_dwordx4 v36, v[20:23], s[18:19] offset:32
	;; [unrolled: 1-line block ×3, first 2 shown]
	s_and_saveexec_b64 s[18:19], s[4:5]
	s_cbranch_execz .LBB27_214
; %bb.207:                              ;   in Loop: Header=BB27_143 Depth=1
	global_load_dwordx2 v[16:17], v33, s[10:11] offset:32 glc
	global_load_dwordx2 v[6:7], v33, s[10:11] offset:40
	v_mov_b32_e32 v14, s16
	v_mov_b32_e32 v15, s17
	s_waitcnt vmcnt(0)
	v_readfirstlane_b32 s20, v6
	v_readfirstlane_b32 s21, v7
	s_and_b64 s[20:21], s[20:21], s[16:17]
	s_mul_i32 s21, s21, 24
	s_mul_hi_u32 s22, s20, 24
	s_mul_i32 s20, s20, 24
	s_add_i32 s21, s22, s21
	v_mov_b32_e32 v6, s21
	v_add_co_u32_e32 v12, vcc, s20, v28
	v_addc_co_u32_e32 v13, vcc, v29, v6, vcc
	global_store_dwordx2 v[12:13], v[16:17], off
	buffer_wbl2
	s_waitcnt vmcnt(0)
	global_atomic_cmpswap_x2 v[8:9], v33, v[14:17], s[10:11] offset:32 glc
	s_waitcnt vmcnt(0)
	v_cmp_ne_u64_e32 vcc, v[8:9], v[16:17]
	s_and_saveexec_b64 s[20:21], vcc
	s_cbranch_execz .LBB27_210
; %bb.208:                              ;   in Loop: Header=BB27_143 Depth=1
	s_mov_b64 s[22:23], 0
.LBB27_209:                             ;   Parent Loop BB27_143 Depth=1
                                        ; =>  This Inner Loop Header: Depth=2
	s_sleep 1
	global_store_dwordx2 v[12:13], v[8:9], off
	v_mov_b32_e32 v6, s16
	v_mov_b32_e32 v7, s17
	buffer_wbl2
	s_waitcnt vmcnt(0)
	global_atomic_cmpswap_x2 v[6:7], v33, v[6:9], s[10:11] offset:32 glc
	s_waitcnt vmcnt(0)
	v_cmp_eq_u64_e32 vcc, v[6:7], v[8:9]
	s_or_b64 s[22:23], vcc, s[22:23]
	v_pk_mov_b32 v[8:9], v[6:7], v[6:7] op_sel:[0,1]
	s_andn2_b64 exec, exec, s[22:23]
	s_cbranch_execnz .LBB27_209
.LBB27_210:                             ;   in Loop: Header=BB27_143 Depth=1
	s_or_b64 exec, exec, s[20:21]
	global_load_dwordx2 v[6:7], v33, s[10:11] offset:16
	s_mov_b64 s[22:23], exec
	v_mbcnt_lo_u32_b32 v8, s22, 0
	v_mbcnt_hi_u32_b32 v8, s23, v8
	v_cmp_eq_u32_e32 vcc, 0, v8
	s_and_saveexec_b64 s[20:21], vcc
	s_cbranch_execz .LBB27_212
; %bb.211:                              ;   in Loop: Header=BB27_143 Depth=1
	s_bcnt1_i32_b64 s22, s[22:23]
	v_mov_b32_e32 v32, s22
	buffer_wbl2
	s_waitcnt vmcnt(0)
	global_atomic_add_x2 v[6:7], v[32:33], off offset:8
.LBB27_212:                             ;   in Loop: Header=BB27_143 Depth=1
	s_or_b64 exec, exec, s[20:21]
	s_waitcnt vmcnt(0)
	global_load_dwordx2 v[8:9], v[6:7], off offset:16
	s_waitcnt vmcnt(0)
	v_cmp_eq_u64_e32 vcc, 0, v[8:9]
	s_cbranch_vccnz .LBB27_214
; %bb.213:                              ;   in Loop: Header=BB27_143 Depth=1
	global_load_dword v32, v[6:7], off offset:24
	s_waitcnt vmcnt(0)
	v_and_b32_e32 v6, 0xffffff, v32
	v_readfirstlane_b32 m0, v6
	buffer_wbl2
	global_store_dwordx2 v[8:9], v[32:33], off
	s_sendmsg sendmsg(MSG_INTERRUPT)
.LBB27_214:                             ;   in Loop: Header=BB27_143 Depth=1
	s_or_b64 exec, exec, s[18:19]
	v_add_co_u32_e32 v6, vcc, v30, v36
	v_addc_co_u32_e32 v7, vcc, 0, v3, vcc
	s_branch .LBB27_218
.LBB27_215:                             ;   in Loop: Header=BB27_218 Depth=2
	s_or_b64 exec, exec, s[18:19]
	v_readfirstlane_b32 s18, v3
	s_cmp_eq_u32 s18, 0
	s_cbranch_scc1 .LBB27_217
; %bb.216:                              ;   in Loop: Header=BB27_218 Depth=2
	s_sleep 1
	s_cbranch_execnz .LBB27_218
	s_branch .LBB27_220
.LBB27_217:                             ;   in Loop: Header=BB27_143 Depth=1
	s_branch .LBB27_220
.LBB27_218:                             ;   Parent Loop BB27_143 Depth=1
                                        ; =>  This Inner Loop Header: Depth=2
	v_mov_b32_e32 v3, 1
	s_and_saveexec_b64 s[18:19], s[4:5]
	s_cbranch_execz .LBB27_215
; %bb.219:                              ;   in Loop: Header=BB27_218 Depth=2
	global_load_dword v3, v[34:35], off offset:20 glc
	s_waitcnt vmcnt(0)
	buffer_invl2
	buffer_wbinvl1_vol
	v_and_b32_e32 v3, 1, v3
	s_branch .LBB27_215
.LBB27_220:                             ;   in Loop: Header=BB27_143 Depth=1
	global_load_dwordx4 v[6:9], v[6:7], off
	s_and_saveexec_b64 s[18:19], s[4:5]
	s_cbranch_execz .LBB27_142
; %bb.221:                              ;   in Loop: Header=BB27_143 Depth=1
	global_load_dwordx2 v[8:9], v33, s[10:11] offset:40
	global_load_dwordx2 v[16:17], v33, s[10:11] offset:24 glc
	global_load_dwordx2 v[18:19], v33, s[10:11]
	v_mov_b32_e32 v3, s17
	s_waitcnt vmcnt(2)
	v_add_co_u32_e32 v15, vcc, 1, v8
	v_addc_co_u32_e32 v20, vcc, 0, v9, vcc
	v_add_co_u32_e32 v12, vcc, s16, v15
	v_addc_co_u32_e32 v13, vcc, v20, v3, vcc
	v_cmp_eq_u64_e32 vcc, 0, v[12:13]
	v_cndmask_b32_e32 v13, v13, v20, vcc
	v_cndmask_b32_e32 v12, v12, v15, vcc
	v_and_b32_e32 v3, v13, v9
	v_and_b32_e32 v8, v12, v8
	v_mul_lo_u32 v3, v3, 24
	v_mul_hi_u32 v9, v8, 24
	v_mul_lo_u32 v8, v8, 24
	v_add_u32_e32 v3, v9, v3
	s_waitcnt vmcnt(0)
	v_add_co_u32_e32 v8, vcc, v18, v8
	v_addc_co_u32_e32 v9, vcc, v19, v3, vcc
	v_mov_b32_e32 v14, v16
	global_store_dwordx2 v[8:9], v[16:17], off
	v_mov_b32_e32 v15, v17
	buffer_wbl2
	s_waitcnt vmcnt(0)
	global_atomic_cmpswap_x2 v[14:15], v33, v[12:15], s[10:11] offset:24 glc
	s_waitcnt vmcnt(0)
	v_cmp_ne_u64_e32 vcc, v[14:15], v[16:17]
	s_and_b64 exec, exec, vcc
	s_cbranch_execz .LBB27_142
; %bb.222:                              ;   in Loop: Header=BB27_143 Depth=1
	s_mov_b64 s[4:5], 0
.LBB27_223:                             ;   Parent Loop BB27_143 Depth=1
                                        ; =>  This Inner Loop Header: Depth=2
	s_sleep 1
	global_store_dwordx2 v[8:9], v[14:15], off
	buffer_wbl2
	s_waitcnt vmcnt(0)
	global_atomic_cmpswap_x2 v[16:17], v33, v[12:15], s[10:11] offset:24 glc
	s_waitcnt vmcnt(0)
	v_cmp_eq_u64_e32 vcc, v[16:17], v[14:15]
	s_or_b64 s[4:5], vcc, s[4:5]
	v_pk_mov_b32 v[14:15], v[16:17], v[16:17] op_sel:[0,1]
	s_andn2_b64 exec, exec, s[4:5]
	s_cbranch_execnz .LBB27_223
	s_branch .LBB27_142
.LBB27_224:
                                        ; implicit-def: $vgpr6_vgpr7
	s_cbranch_execnz .LBB27_226
	s_branch .LBB27_252
.LBB27_225:
	s_branch .LBB27_252
.LBB27_226:
	v_readfirstlane_b32 s4, v37
	v_cmp_eq_u32_e64 s[4:5], s4, v37
	v_pk_mov_b32 v[10:11], 0, 0
	s_and_saveexec_b64 s[6:7], s[4:5]
	s_cbranch_execz .LBB27_232
; %bb.227:
	s_waitcnt vmcnt(0)
	v_mov_b32_e32 v2, 0
	global_load_dwordx2 v[8:9], v2, s[10:11] offset:24 glc
	s_waitcnt vmcnt(0)
	buffer_invl2
	buffer_wbinvl1_vol
	global_load_dwordx2 v[6:7], v2, s[10:11] offset:40
	global_load_dwordx2 v[10:11], v2, s[10:11]
	s_waitcnt vmcnt(1)
	v_and_b32_e32 v3, v6, v8
	v_and_b32_e32 v6, v7, v9
	v_mul_lo_u32 v6, v6, 24
	v_mul_hi_u32 v7, v3, 24
	v_mul_lo_u32 v3, v3, 24
	v_add_u32_e32 v7, v7, v6
	s_waitcnt vmcnt(0)
	v_add_co_u32_e32 v6, vcc, v10, v3
	v_addc_co_u32_e32 v7, vcc, v11, v7, vcc
	global_load_dwordx2 v[6:7], v[6:7], off glc
	s_waitcnt vmcnt(0)
	global_atomic_cmpswap_x2 v[10:11], v2, v[6:9], s[10:11] offset:24 glc
	s_waitcnt vmcnt(0)
	buffer_invl2
	buffer_wbinvl1_vol
	v_cmp_ne_u64_e32 vcc, v[10:11], v[8:9]
	s_and_saveexec_b64 s[12:13], vcc
	s_cbranch_execz .LBB27_231
; %bb.228:
	s_mov_b64 s[14:15], 0
.LBB27_229:                             ; =>This Inner Loop Header: Depth=1
	s_sleep 1
	global_load_dwordx2 v[6:7], v2, s[10:11] offset:40
	global_load_dwordx2 v[12:13], v2, s[10:11]
	v_pk_mov_b32 v[8:9], v[10:11], v[10:11] op_sel:[0,1]
	s_waitcnt vmcnt(1)
	v_and_b32_e32 v6, v6, v8
	v_and_b32_e32 v3, v7, v9
	s_waitcnt vmcnt(0)
	v_mad_u64_u32 v[6:7], s[16:17], v6, 24, v[12:13]
	v_mov_b32_e32 v10, v7
	v_mad_u64_u32 v[10:11], s[16:17], v3, 24, v[10:11]
	v_mov_b32_e32 v7, v10
	global_load_dwordx2 v[6:7], v[6:7], off glc
	s_waitcnt vmcnt(0)
	global_atomic_cmpswap_x2 v[10:11], v2, v[6:9], s[10:11] offset:24 glc
	s_waitcnt vmcnt(0)
	buffer_invl2
	buffer_wbinvl1_vol
	v_cmp_eq_u64_e32 vcc, v[10:11], v[8:9]
	s_or_b64 s[14:15], vcc, s[14:15]
	s_andn2_b64 exec, exec, s[14:15]
	s_cbranch_execnz .LBB27_229
; %bb.230:
	s_or_b64 exec, exec, s[14:15]
.LBB27_231:
	s_or_b64 exec, exec, s[12:13]
.LBB27_232:
	s_or_b64 exec, exec, s[6:7]
	s_waitcnt vmcnt(0)
	v_mov_b32_e32 v2, 0
	global_load_dwordx2 v[12:13], v2, s[10:11] offset:40
	global_load_dwordx4 v[6:9], v2, s[10:11]
	v_readfirstlane_b32 s6, v10
	v_readfirstlane_b32 s7, v11
	s_mov_b64 s[12:13], exec
	s_waitcnt vmcnt(1)
	v_readfirstlane_b32 s14, v12
	v_readfirstlane_b32 s15, v13
	s_and_b64 s[14:15], s[6:7], s[14:15]
	s_mul_i32 s16, s15, 24
	s_mul_hi_u32 s17, s14, 24
	s_mul_i32 s18, s14, 24
	s_add_i32 s16, s17, s16
	v_mov_b32_e32 v3, s16
	s_waitcnt vmcnt(0)
	v_add_co_u32_e32 v10, vcc, s18, v6
	v_addc_co_u32_e32 v11, vcc, v7, v3, vcc
	s_and_saveexec_b64 s[16:17], s[4:5]
	s_cbranch_execz .LBB27_234
; %bb.233:
	v_pk_mov_b32 v[12:13], s[12:13], s[12:13] op_sel:[0,1]
	v_mov_b32_e32 v14, 2
	v_mov_b32_e32 v15, 1
	global_store_dwordx4 v[10:11], v[12:15], off offset:8
.LBB27_234:
	s_or_b64 exec, exec, s[16:17]
	s_lshl_b64 s[12:13], s[14:15], 12
	v_mov_b32_e32 v3, s13
	v_add_co_u32_e32 v12, vcc, s12, v8
	s_movk_i32 s12, 0xff1f
	v_addc_co_u32_e32 v13, vcc, v9, v3, vcc
	v_and_or_b32 v0, v0, s12, 32
	s_mov_b32 s12, 0
	v_mov_b32_e32 v3, v2
	v_readfirstlane_b32 s16, v12
	v_readfirstlane_b32 s17, v13
	s_mov_b32 s13, s12
	v_add_co_u32_e32 v8, vcc, v12, v36
	s_mov_b32 s14, s12
	s_mov_b32 s15, s12
	s_nop 0
	global_store_dwordx4 v36, v[0:3], s[16:17]
	v_addc_co_u32_e32 v9, vcc, 0, v13, vcc
	v_pk_mov_b32 v[0:1], s[12:13], s[12:13] op_sel:[0,1]
	v_pk_mov_b32 v[2:3], s[14:15], s[14:15] op_sel:[0,1]
	global_store_dwordx4 v36, v[0:3], s[16:17] offset:16
	global_store_dwordx4 v36, v[0:3], s[16:17] offset:32
	;; [unrolled: 1-line block ×3, first 2 shown]
	s_and_saveexec_b64 s[12:13], s[4:5]
	s_cbranch_execz .LBB27_242
; %bb.235:
	v_mov_b32_e32 v12, 0
	global_load_dwordx2 v[16:17], v12, s[10:11] offset:32 glc
	global_load_dwordx2 v[0:1], v12, s[10:11] offset:40
	v_mov_b32_e32 v14, s6
	v_mov_b32_e32 v15, s7
	s_waitcnt vmcnt(0)
	v_readfirstlane_b32 s14, v0
	v_readfirstlane_b32 s15, v1
	s_and_b64 s[14:15], s[14:15], s[6:7]
	s_mul_i32 s15, s15, 24
	s_mul_hi_u32 s16, s14, 24
	s_mul_i32 s14, s14, 24
	s_add_i32 s15, s16, s15
	v_mov_b32_e32 v0, s15
	v_add_co_u32_e32 v6, vcc, s14, v6
	v_addc_co_u32_e32 v7, vcc, v7, v0, vcc
	global_store_dwordx2 v[6:7], v[16:17], off
	buffer_wbl2
	s_waitcnt vmcnt(0)
	global_atomic_cmpswap_x2 v[2:3], v12, v[14:17], s[10:11] offset:32 glc
	s_waitcnt vmcnt(0)
	v_cmp_ne_u64_e32 vcc, v[2:3], v[16:17]
	s_and_saveexec_b64 s[14:15], vcc
	s_cbranch_execz .LBB27_238
; %bb.236:
	s_mov_b64 s[16:17], 0
.LBB27_237:                             ; =>This Inner Loop Header: Depth=1
	s_sleep 1
	global_store_dwordx2 v[6:7], v[2:3], off
	v_mov_b32_e32 v0, s6
	v_mov_b32_e32 v1, s7
	buffer_wbl2
	s_waitcnt vmcnt(0)
	global_atomic_cmpswap_x2 v[0:1], v12, v[0:3], s[10:11] offset:32 glc
	s_waitcnt vmcnt(0)
	v_cmp_eq_u64_e32 vcc, v[0:1], v[2:3]
	s_or_b64 s[16:17], vcc, s[16:17]
	v_pk_mov_b32 v[2:3], v[0:1], v[0:1] op_sel:[0,1]
	s_andn2_b64 exec, exec, s[16:17]
	s_cbranch_execnz .LBB27_237
.LBB27_238:
	s_or_b64 exec, exec, s[14:15]
	v_mov_b32_e32 v3, 0
	global_load_dwordx2 v[0:1], v3, s[10:11] offset:16
	s_mov_b64 s[14:15], exec
	v_mbcnt_lo_u32_b32 v2, s14, 0
	v_mbcnt_hi_u32_b32 v2, s15, v2
	v_cmp_eq_u32_e32 vcc, 0, v2
	s_and_saveexec_b64 s[16:17], vcc
	s_cbranch_execz .LBB27_240
; %bb.239:
	s_bcnt1_i32_b64 s14, s[14:15]
	v_mov_b32_e32 v2, s14
	buffer_wbl2
	s_waitcnt vmcnt(0)
	global_atomic_add_x2 v[0:1], v[2:3], off offset:8
.LBB27_240:
	s_or_b64 exec, exec, s[16:17]
	s_waitcnt vmcnt(0)
	global_load_dwordx2 v[2:3], v[0:1], off offset:16
	s_waitcnt vmcnt(0)
	v_cmp_eq_u64_e32 vcc, 0, v[2:3]
	s_cbranch_vccnz .LBB27_242
; %bb.241:
	global_load_dword v0, v[0:1], off offset:24
	v_mov_b32_e32 v1, 0
	buffer_wbl2
	s_waitcnt vmcnt(0)
	global_store_dwordx2 v[2:3], v[0:1], off
	v_and_b32_e32 v0, 0xffffff, v0
	v_readfirstlane_b32 m0, v0
	s_sendmsg sendmsg(MSG_INTERRUPT)
.LBB27_242:
	s_or_b64 exec, exec, s[12:13]
	s_branch .LBB27_246
.LBB27_243:                             ;   in Loop: Header=BB27_246 Depth=1
	s_or_b64 exec, exec, s[12:13]
	v_readfirstlane_b32 s12, v0
	s_cmp_eq_u32 s12, 0
	s_cbranch_scc1 .LBB27_245
; %bb.244:                              ;   in Loop: Header=BB27_246 Depth=1
	s_sleep 1
	s_cbranch_execnz .LBB27_246
	s_branch .LBB27_248
.LBB27_245:
	s_branch .LBB27_248
.LBB27_246:                             ; =>This Inner Loop Header: Depth=1
	v_mov_b32_e32 v0, 1
	s_and_saveexec_b64 s[12:13], s[4:5]
	s_cbranch_execz .LBB27_243
; %bb.247:                              ;   in Loop: Header=BB27_246 Depth=1
	global_load_dword v0, v[10:11], off offset:20 glc
	s_waitcnt vmcnt(0)
	buffer_invl2
	buffer_wbinvl1_vol
	v_and_b32_e32 v0, 1, v0
	s_branch .LBB27_243
.LBB27_248:
	global_load_dwordx2 v[6:7], v[8:9], off
	s_and_saveexec_b64 s[12:13], s[4:5]
	s_cbranch_execz .LBB27_251
; %bb.249:
	v_mov_b32_e32 v10, 0
	global_load_dwordx2 v[8:9], v10, s[10:11] offset:40
	global_load_dwordx2 v[12:13], v10, s[10:11] offset:24 glc
	global_load_dwordx2 v[14:15], v10, s[10:11]
	v_mov_b32_e32 v1, s7
	s_mov_b64 s[4:5], 0
	s_waitcnt vmcnt(2)
	v_add_co_u32_e32 v3, vcc, 1, v8
	v_addc_co_u32_e32 v11, vcc, 0, v9, vcc
	v_add_co_u32_e32 v0, vcc, s6, v3
	v_addc_co_u32_e32 v1, vcc, v11, v1, vcc
	v_cmp_eq_u64_e32 vcc, 0, v[0:1]
	v_cndmask_b32_e32 v1, v1, v11, vcc
	v_cndmask_b32_e32 v0, v0, v3, vcc
	v_and_b32_e32 v3, v1, v9
	v_and_b32_e32 v8, v0, v8
	v_mul_lo_u32 v3, v3, 24
	v_mul_hi_u32 v9, v8, 24
	v_mul_lo_u32 v8, v8, 24
	v_add_u32_e32 v3, v9, v3
	s_waitcnt vmcnt(0)
	v_add_co_u32_e32 v8, vcc, v14, v8
	v_addc_co_u32_e32 v9, vcc, v15, v3, vcc
	v_mov_b32_e32 v2, v12
	global_store_dwordx2 v[8:9], v[12:13], off
	v_mov_b32_e32 v3, v13
	buffer_wbl2
	s_waitcnt vmcnt(0)
	global_atomic_cmpswap_x2 v[2:3], v10, v[0:3], s[10:11] offset:24 glc
	s_waitcnt vmcnt(0)
	v_cmp_ne_u64_e32 vcc, v[2:3], v[12:13]
	s_and_b64 exec, exec, vcc
	s_cbranch_execz .LBB27_251
.LBB27_250:                             ; =>This Inner Loop Header: Depth=1
	s_sleep 1
	global_store_dwordx2 v[8:9], v[2:3], off
	buffer_wbl2
	s_waitcnt vmcnt(0)
	global_atomic_cmpswap_x2 v[12:13], v10, v[0:3], s[10:11] offset:24 glc
	s_waitcnt vmcnt(0)
	v_cmp_eq_u64_e32 vcc, v[12:13], v[2:3]
	s_or_b64 s[4:5], vcc, s[4:5]
	v_pk_mov_b32 v[2:3], v[12:13], v[12:13] op_sel:[0,1]
	s_andn2_b64 exec, exec, s[4:5]
	s_cbranch_execnz .LBB27_250
.LBB27_251:
	s_or_b64 exec, exec, s[12:13]
.LBB27_252:
	v_readfirstlane_b32 s4, v37
	v_cmp_eq_u32_e64 s[4:5], s4, v37
	v_pk_mov_b32 v[10:11], 0, 0
	s_and_saveexec_b64 s[6:7], s[4:5]
	s_cbranch_execz .LBB27_258
; %bb.253:
	s_waitcnt vmcnt(0)
	v_mov_b32_e32 v0, 0
	global_load_dwordx2 v[12:13], v0, s[10:11] offset:24 glc
	s_waitcnt vmcnt(0)
	buffer_invl2
	buffer_wbinvl1_vol
	global_load_dwordx2 v[2:3], v0, s[10:11] offset:40
	global_load_dwordx2 v[8:9], v0, s[10:11]
	s_waitcnt vmcnt(1)
	v_and_b32_e32 v1, v2, v12
	v_and_b32_e32 v2, v3, v13
	v_mul_lo_u32 v2, v2, 24
	v_mul_hi_u32 v3, v1, 24
	v_mul_lo_u32 v1, v1, 24
	v_add_u32_e32 v3, v3, v2
	s_waitcnt vmcnt(0)
	v_add_co_u32_e32 v2, vcc, v8, v1
	v_addc_co_u32_e32 v3, vcc, v9, v3, vcc
	global_load_dwordx2 v[10:11], v[2:3], off glc
	s_waitcnt vmcnt(0)
	global_atomic_cmpswap_x2 v[10:11], v0, v[10:13], s[10:11] offset:24 glc
	s_waitcnt vmcnt(0)
	buffer_invl2
	buffer_wbinvl1_vol
	v_cmp_ne_u64_e32 vcc, v[10:11], v[12:13]
	s_and_saveexec_b64 s[12:13], vcc
	s_cbranch_execz .LBB27_257
; %bb.254:
	s_mov_b64 s[14:15], 0
.LBB27_255:                             ; =>This Inner Loop Header: Depth=1
	s_sleep 1
	global_load_dwordx2 v[2:3], v0, s[10:11] offset:40
	global_load_dwordx2 v[8:9], v0, s[10:11]
	v_pk_mov_b32 v[12:13], v[10:11], v[10:11] op_sel:[0,1]
	s_waitcnt vmcnt(1)
	v_and_b32_e32 v2, v2, v12
	v_and_b32_e32 v1, v3, v13
	s_waitcnt vmcnt(0)
	v_mad_u64_u32 v[2:3], s[16:17], v2, 24, v[8:9]
	v_mov_b32_e32 v8, v3
	v_mad_u64_u32 v[8:9], s[16:17], v1, 24, v[8:9]
	v_mov_b32_e32 v3, v8
	global_load_dwordx2 v[10:11], v[2:3], off glc
	s_waitcnt vmcnt(0)
	global_atomic_cmpswap_x2 v[10:11], v0, v[10:13], s[10:11] offset:24 glc
	s_waitcnt vmcnt(0)
	buffer_invl2
	buffer_wbinvl1_vol
	v_cmp_eq_u64_e32 vcc, v[10:11], v[12:13]
	s_or_b64 s[14:15], vcc, s[14:15]
	s_andn2_b64 exec, exec, s[14:15]
	s_cbranch_execnz .LBB27_255
; %bb.256:
	s_or_b64 exec, exec, s[14:15]
.LBB27_257:
	s_or_b64 exec, exec, s[12:13]
.LBB27_258:
	s_or_b64 exec, exec, s[6:7]
	s_waitcnt vmcnt(0)
	v_mov_b32_e32 v9, 0
	global_load_dwordx2 v[12:13], v9, s[10:11] offset:40
	global_load_dwordx4 v[0:3], v9, s[10:11]
	v_readfirstlane_b32 s6, v10
	v_readfirstlane_b32 s7, v11
	s_mov_b64 s[12:13], exec
	s_waitcnt vmcnt(1)
	v_readfirstlane_b32 s14, v12
	v_readfirstlane_b32 s15, v13
	s_and_b64 s[14:15], s[6:7], s[14:15]
	s_mul_i32 s16, s15, 24
	s_mul_hi_u32 s17, s14, 24
	s_mul_i32 s18, s14, 24
	s_add_i32 s16, s17, s16
	v_mov_b32_e32 v8, s16
	s_waitcnt vmcnt(0)
	v_add_co_u32_e32 v10, vcc, s18, v0
	v_addc_co_u32_e32 v11, vcc, v1, v8, vcc
	s_and_saveexec_b64 s[16:17], s[4:5]
	s_cbranch_execz .LBB27_260
; %bb.259:
	v_pk_mov_b32 v[12:13], s[12:13], s[12:13] op_sel:[0,1]
	v_mov_b32_e32 v14, 2
	v_mov_b32_e32 v15, 1
	global_store_dwordx4 v[10:11], v[12:15], off offset:8
.LBB27_260:
	s_or_b64 exec, exec, s[16:17]
	s_lshl_b64 s[12:13], s[14:15], 12
	v_mov_b32_e32 v8, s13
	v_add_co_u32_e32 v2, vcc, s12, v2
	s_movk_i32 s12, 0xff1f
	v_addc_co_u32_e32 v3, vcc, v3, v8, vcc
	v_and_or_b32 v6, v6, s12, 32
	s_mov_b32 s12, 0
	v_mov_b32_e32 v8, 0x27a
	v_readfirstlane_b32 s16, v2
	v_readfirstlane_b32 s17, v3
	s_mov_b32 s13, s12
	v_add_co_u32_e32 v12, vcc, v2, v36
	s_mov_b32 s14, s12
	s_mov_b32 s15, s12
	s_nop 0
	global_store_dwordx4 v36, v[6:9], s[16:17]
	v_addc_co_u32_e32 v13, vcc, 0, v3, vcc
	v_pk_mov_b32 v[6:7], s[12:13], s[12:13] op_sel:[0,1]
	v_pk_mov_b32 v[8:9], s[14:15], s[14:15] op_sel:[0,1]
	global_store_dwordx4 v36, v[6:9], s[16:17] offset:16
	global_store_dwordx4 v36, v[6:9], s[16:17] offset:32
	;; [unrolled: 1-line block ×3, first 2 shown]
	s_and_saveexec_b64 s[12:13], s[4:5]
	s_cbranch_execz .LBB27_268
; %bb.261:
	v_mov_b32_e32 v8, 0
	global_load_dwordx2 v[16:17], v8, s[10:11] offset:32 glc
	global_load_dwordx2 v[2:3], v8, s[10:11] offset:40
	v_mov_b32_e32 v14, s6
	v_mov_b32_e32 v15, s7
	s_waitcnt vmcnt(0)
	v_readfirstlane_b32 s14, v2
	v_readfirstlane_b32 s15, v3
	s_and_b64 s[14:15], s[14:15], s[6:7]
	s_mul_i32 s15, s15, 24
	s_mul_hi_u32 s16, s14, 24
	s_mul_i32 s14, s14, 24
	s_add_i32 s15, s16, s15
	v_mov_b32_e32 v2, s15
	v_add_co_u32_e32 v6, vcc, s14, v0
	v_addc_co_u32_e32 v7, vcc, v1, v2, vcc
	global_store_dwordx2 v[6:7], v[16:17], off
	buffer_wbl2
	s_waitcnt vmcnt(0)
	global_atomic_cmpswap_x2 v[2:3], v8, v[14:17], s[10:11] offset:32 glc
	s_waitcnt vmcnt(0)
	v_cmp_ne_u64_e32 vcc, v[2:3], v[16:17]
	s_and_saveexec_b64 s[14:15], vcc
	s_cbranch_execz .LBB27_264
; %bb.262:
	s_mov_b64 s[16:17], 0
.LBB27_263:                             ; =>This Inner Loop Header: Depth=1
	s_sleep 1
	global_store_dwordx2 v[6:7], v[2:3], off
	v_mov_b32_e32 v0, s6
	v_mov_b32_e32 v1, s7
	buffer_wbl2
	s_waitcnt vmcnt(0)
	global_atomic_cmpswap_x2 v[0:1], v8, v[0:3], s[10:11] offset:32 glc
	s_waitcnt vmcnt(0)
	v_cmp_eq_u64_e32 vcc, v[0:1], v[2:3]
	s_or_b64 s[16:17], vcc, s[16:17]
	v_pk_mov_b32 v[2:3], v[0:1], v[0:1] op_sel:[0,1]
	s_andn2_b64 exec, exec, s[16:17]
	s_cbranch_execnz .LBB27_263
.LBB27_264:
	s_or_b64 exec, exec, s[14:15]
	v_mov_b32_e32 v3, 0
	global_load_dwordx2 v[0:1], v3, s[10:11] offset:16
	s_mov_b64 s[14:15], exec
	v_mbcnt_lo_u32_b32 v2, s14, 0
	v_mbcnt_hi_u32_b32 v2, s15, v2
	v_cmp_eq_u32_e32 vcc, 0, v2
	s_and_saveexec_b64 s[16:17], vcc
	s_cbranch_execz .LBB27_266
; %bb.265:
	s_bcnt1_i32_b64 s14, s[14:15]
	v_mov_b32_e32 v2, s14
	buffer_wbl2
	s_waitcnt vmcnt(0)
	global_atomic_add_x2 v[0:1], v[2:3], off offset:8
.LBB27_266:
	s_or_b64 exec, exec, s[16:17]
	s_waitcnt vmcnt(0)
	global_load_dwordx2 v[2:3], v[0:1], off offset:16
	s_waitcnt vmcnt(0)
	v_cmp_eq_u64_e32 vcc, 0, v[2:3]
	s_cbranch_vccnz .LBB27_268
; %bb.267:
	global_load_dword v0, v[0:1], off offset:24
	v_mov_b32_e32 v1, 0
	buffer_wbl2
	s_waitcnt vmcnt(0)
	global_store_dwordx2 v[2:3], v[0:1], off
	v_and_b32_e32 v0, 0xffffff, v0
	v_readfirstlane_b32 m0, v0
	s_sendmsg sendmsg(MSG_INTERRUPT)
.LBB27_268:
	s_or_b64 exec, exec, s[12:13]
	s_branch .LBB27_272
.LBB27_269:                             ;   in Loop: Header=BB27_272 Depth=1
	s_or_b64 exec, exec, s[12:13]
	v_readfirstlane_b32 s12, v0
	s_cmp_eq_u32 s12, 0
	s_cbranch_scc1 .LBB27_271
; %bb.270:                              ;   in Loop: Header=BB27_272 Depth=1
	s_sleep 1
	s_cbranch_execnz .LBB27_272
	s_branch .LBB27_274
.LBB27_271:
	s_branch .LBB27_274
.LBB27_272:                             ; =>This Inner Loop Header: Depth=1
	v_mov_b32_e32 v0, 1
	s_and_saveexec_b64 s[12:13], s[4:5]
	s_cbranch_execz .LBB27_269
; %bb.273:                              ;   in Loop: Header=BB27_272 Depth=1
	global_load_dword v0, v[10:11], off offset:20 glc
	s_waitcnt vmcnt(0)
	buffer_invl2
	buffer_wbinvl1_vol
	v_and_b32_e32 v0, 1, v0
	s_branch .LBB27_269
.LBB27_274:
	global_load_dwordx2 v[0:1], v[12:13], off
	s_and_saveexec_b64 s[12:13], s[4:5]
	s_cbranch_execz .LBB27_277
; %bb.275:
	v_mov_b32_e32 v10, 0
	global_load_dwordx2 v[2:3], v10, s[10:11] offset:40
	global_load_dwordx2 v[12:13], v10, s[10:11] offset:24 glc
	global_load_dwordx2 v[14:15], v10, s[10:11]
	v_mov_b32_e32 v7, s7
	s_mov_b64 s[4:5], 0
	s_waitcnt vmcnt(2)
	v_add_co_u32_e32 v9, vcc, 1, v2
	v_addc_co_u32_e32 v11, vcc, 0, v3, vcc
	v_add_co_u32_e32 v6, vcc, s6, v9
	v_addc_co_u32_e32 v7, vcc, v11, v7, vcc
	v_cmp_eq_u64_e32 vcc, 0, v[6:7]
	v_cndmask_b32_e32 v7, v7, v11, vcc
	v_cndmask_b32_e32 v6, v6, v9, vcc
	v_and_b32_e32 v3, v7, v3
	v_and_b32_e32 v2, v6, v2
	v_mul_lo_u32 v3, v3, 24
	v_mul_hi_u32 v9, v2, 24
	v_mul_lo_u32 v2, v2, 24
	v_add_u32_e32 v3, v9, v3
	s_waitcnt vmcnt(0)
	v_add_co_u32_e32 v2, vcc, v14, v2
	v_addc_co_u32_e32 v3, vcc, v15, v3, vcc
	v_mov_b32_e32 v8, v12
	global_store_dwordx2 v[2:3], v[12:13], off
	v_mov_b32_e32 v9, v13
	buffer_wbl2
	s_waitcnt vmcnt(0)
	global_atomic_cmpswap_x2 v[8:9], v10, v[6:9], s[10:11] offset:24 glc
	s_waitcnt vmcnt(0)
	v_cmp_ne_u64_e32 vcc, v[8:9], v[12:13]
	s_and_b64 exec, exec, vcc
	s_cbranch_execz .LBB27_277
.LBB27_276:                             ; =>This Inner Loop Header: Depth=1
	s_sleep 1
	global_store_dwordx2 v[2:3], v[8:9], off
	buffer_wbl2
	s_waitcnt vmcnt(0)
	global_atomic_cmpswap_x2 v[12:13], v10, v[6:9], s[10:11] offset:24 glc
	s_waitcnt vmcnt(0)
	v_cmp_eq_u64_e32 vcc, v[12:13], v[8:9]
	s_or_b64 s[4:5], vcc, s[4:5]
	v_pk_mov_b32 v[8:9], v[12:13], v[12:13] op_sel:[0,1]
	s_andn2_b64 exec, exec, s[4:5]
	s_cbranch_execnz .LBB27_276
.LBB27_277:
	s_or_b64 exec, exec, s[12:13]
	s_mov_b64 s[4:5], 0
	v_pk_mov_b32 v[6:7], v[4:5], v[4:5] op_sel:[0,1]
.LBB27_278:                             ; =>This Inner Loop Header: Depth=1
	flat_load_ubyte v8, v[6:7]
	v_add_co_u32_e32 v2, vcc, 1, v6
	v_addc_co_u32_e32 v3, vcc, 0, v7, vcc
	v_pk_mov_b32 v[6:7], v[2:3], v[2:3] op_sel:[0,1]
	s_waitcnt vmcnt(0) lgkmcnt(0)
	v_cmp_eq_u16_e32 vcc, 0, v8
	s_or_b64 s[4:5], vcc, s[4:5]
	s_andn2_b64 exec, exec, s[4:5]
	s_cbranch_execnz .LBB27_278
; %bb.279:
	s_or_b64 exec, exec, s[4:5]
	s_mov_b64 s[6:7], 0
	v_cmp_ne_u64_e32 vcc, 0, v[4:5]
	s_and_saveexec_b64 s[4:5], vcc
	s_xor_b64 s[12:13], exec, s[4:5]
	s_cbranch_execz .LBB27_365
; %bb.280:
	v_sub_u32_e32 v26, v2, v4
	v_ashrrev_i32_e32 v27, 31, v26
	v_and_b32_e32 v28, 2, v0
	v_mov_b32_e32 v31, 0
	v_and_b32_e32 v0, -3, v0
	s_mov_b32 s22, 0
	s_movk_i32 s23, 0xff1f
	v_mov_b32_e32 v8, 2
	v_mov_b32_e32 v9, 1
	s_branch .LBB27_282
.LBB27_281:                             ;   in Loop: Header=BB27_282 Depth=1
	s_or_b64 exec, exec, s[16:17]
	v_sub_co_u32_e32 v26, vcc, v26, v32
	v_subb_co_u32_e32 v27, vcc, v27, v33, vcc
	v_cmp_eq_u64_e32 vcc, 0, v[26:27]
	s_or_b64 s[6:7], vcc, s[6:7]
	v_add_co_u32_e32 v4, vcc, v4, v32
	v_addc_co_u32_e32 v5, vcc, v5, v33, vcc
	s_andn2_b64 exec, exec, s[6:7]
	s_cbranch_execz .LBB27_364
.LBB27_282:                             ; =>This Loop Header: Depth=1
                                        ;     Child Loop BB27_285 Depth 2
                                        ;     Child Loop BB27_293 Depth 2
                                        ;     Child Loop BB27_301 Depth 2
                                        ;     Child Loop BB27_309 Depth 2
                                        ;     Child Loop BB27_317 Depth 2
                                        ;     Child Loop BB27_325 Depth 2
                                        ;     Child Loop BB27_333 Depth 2
                                        ;     Child Loop BB27_341 Depth 2
                                        ;     Child Loop BB27_349 Depth 2
                                        ;     Child Loop BB27_358 Depth 2
                                        ;     Child Loop BB27_363 Depth 2
	v_cmp_gt_u64_e32 vcc, 56, v[26:27]
	v_cndmask_b32_e32 v33, 0, v27, vcc
	v_cndmask_b32_e32 v32, 56, v26, vcc
	v_cmp_gt_u64_e32 vcc, 8, v[26:27]
                                        ; implicit-def: $vgpr2_vgpr3
                                        ; implicit-def: $sgpr14
	s_and_saveexec_b64 s[4:5], vcc
	s_xor_b64 s[4:5], exec, s[4:5]
	s_cbranch_execz .LBB27_288
; %bb.283:                              ;   in Loop: Header=BB27_282 Depth=1
	s_mov_b64 s[16:17], 0
	v_cmp_ne_u64_e32 vcc, 0, v[26:27]
	s_waitcnt vmcnt(0)
	v_pk_mov_b32 v[2:3], 0, 0
	s_and_saveexec_b64 s[14:15], vcc
	s_cbranch_execz .LBB27_287
; %bb.284:                              ;   in Loop: Header=BB27_282 Depth=1
	v_lshlrev_b64 v[6:7], 3, v[32:33]
	v_pk_mov_b32 v[2:3], 0, 0
	v_pk_mov_b32 v[10:11], v[4:5], v[4:5] op_sel:[0,1]
	s_mov_b64 s[18:19], 0
.LBB27_285:                             ;   Parent Loop BB27_282 Depth=1
                                        ; =>  This Inner Loop Header: Depth=2
	flat_load_ubyte v7, v[10:11]
	v_mov_b32_e32 v13, s22
	v_add_co_u32_e32 v10, vcc, 1, v10
	v_addc_co_u32_e32 v11, vcc, 0, v11, vcc
	s_waitcnt vmcnt(0) lgkmcnt(0)
	v_and_b32_e32 v12, 0xffff, v7
	v_lshlrev_b64 v[12:13], s18, v[12:13]
	s_add_u32 s18, s18, 8
	s_addc_u32 s19, s19, 0
	v_cmp_eq_u32_e32 vcc, s18, v6
	v_or_b32_e32 v3, v13, v3
	s_or_b64 s[16:17], vcc, s[16:17]
	v_or_b32_e32 v2, v12, v2
	s_andn2_b64 exec, exec, s[16:17]
	s_cbranch_execnz .LBB27_285
; %bb.286:                              ;   in Loop: Header=BB27_282 Depth=1
	s_or_b64 exec, exec, s[16:17]
.LBB27_287:                             ;   in Loop: Header=BB27_282 Depth=1
	s_or_b64 exec, exec, s[14:15]
	s_mov_b32 s14, 0
.LBB27_288:                             ;   in Loop: Header=BB27_282 Depth=1
	s_or_saveexec_b64 s[4:5], s[4:5]
	v_mov_b32_e32 v12, s14
	v_pk_mov_b32 v[6:7], v[4:5], v[4:5] op_sel:[0,1]
	s_xor_b64 exec, exec, s[4:5]
	s_cbranch_execz .LBB27_290
; %bb.289:                              ;   in Loop: Header=BB27_282 Depth=1
	s_waitcnt vmcnt(0)
	flat_load_dwordx2 v[2:3], v[4:5]
	v_add_u32_e32 v12, -8, v32
	s_waitcnt vmcnt(0) lgkmcnt(0)
	v_and_b32_e32 v6, 0xff, v3
	v_and_b32_e32 v7, 0xff00, v3
	;; [unrolled: 1-line block ×4, first 2 shown]
	v_or_b32_e32 v6, v6, v7
	v_or3_b32 v3, v6, v10, v3
	v_add_co_u32_e32 v6, vcc, 8, v4
	v_or3_b32 v2, v2, 0, 0
	v_addc_co_u32_e32 v7, vcc, 0, v5, vcc
.LBB27_290:                             ;   in Loop: Header=BB27_282 Depth=1
	s_or_b64 exec, exec, s[4:5]
	v_cmp_gt_u32_e32 vcc, 8, v12
                                        ; implicit-def: $vgpr10_vgpr11
                                        ; implicit-def: $sgpr14
	s_and_saveexec_b64 s[4:5], vcc
	s_xor_b64 s[4:5], exec, s[4:5]
	s_cbranch_execz .LBB27_296
; %bb.291:                              ;   in Loop: Header=BB27_282 Depth=1
	v_cmp_ne_u32_e32 vcc, 0, v12
	v_pk_mov_b32 v[10:11], 0, 0
	s_and_saveexec_b64 s[14:15], vcc
	s_cbranch_execz .LBB27_295
; %bb.292:                              ;   in Loop: Header=BB27_282 Depth=1
	s_mov_b64 s[16:17], 0
	v_pk_mov_b32 v[10:11], 0, 0
	s_mov_b64 s[18:19], 0
	s_mov_b64 s[20:21], 0
.LBB27_293:                             ;   Parent Loop BB27_282 Depth=1
                                        ; =>  This Inner Loop Header: Depth=2
	v_mov_b32_e32 v13, s21
	v_add_co_u32_e32 v14, vcc, s20, v6
	v_addc_co_u32_e32 v15, vcc, v7, v13, vcc
	flat_load_ubyte v13, v[14:15]
	s_add_u32 s20, s20, 1
	v_mov_b32_e32 v15, s22
	s_addc_u32 s21, s21, 0
	v_cmp_eq_u32_e32 vcc, s20, v12
	s_waitcnt vmcnt(0) lgkmcnt(0)
	v_and_b32_e32 v14, 0xffff, v13
	v_lshlrev_b64 v[14:15], s18, v[14:15]
	s_add_u32 s18, s18, 8
	s_addc_u32 s19, s19, 0
	v_or_b32_e32 v11, v15, v11
	s_or_b64 s[16:17], vcc, s[16:17]
	v_or_b32_e32 v10, v14, v10
	s_andn2_b64 exec, exec, s[16:17]
	s_cbranch_execnz .LBB27_293
; %bb.294:                              ;   in Loop: Header=BB27_282 Depth=1
	s_or_b64 exec, exec, s[16:17]
.LBB27_295:                             ;   in Loop: Header=BB27_282 Depth=1
	s_or_b64 exec, exec, s[14:15]
	s_mov_b32 s14, 0
                                        ; implicit-def: $vgpr12
.LBB27_296:                             ;   in Loop: Header=BB27_282 Depth=1
	s_or_saveexec_b64 s[4:5], s[4:5]
	v_mov_b32_e32 v14, s14
	s_xor_b64 exec, exec, s[4:5]
	s_cbranch_execz .LBB27_298
; %bb.297:                              ;   in Loop: Header=BB27_282 Depth=1
	flat_load_dwordx2 v[10:11], v[6:7]
	v_add_u32_e32 v14, -8, v12
	v_add_co_u32_e32 v6, vcc, 8, v6
	v_addc_co_u32_e32 v7, vcc, 0, v7, vcc
	s_waitcnt vmcnt(0) lgkmcnt(0)
	v_and_b32_e32 v12, 0xff, v11
	v_and_b32_e32 v13, 0xff00, v11
	;; [unrolled: 1-line block ×4, first 2 shown]
	v_or_b32_e32 v12, v12, v13
	v_or3_b32 v10, v10, 0, 0
	v_or3_b32 v11, v12, v15, v11
.LBB27_298:                             ;   in Loop: Header=BB27_282 Depth=1
	s_or_b64 exec, exec, s[4:5]
	v_cmp_gt_u32_e32 vcc, 8, v14
                                        ; implicit-def: $sgpr14
	s_and_saveexec_b64 s[4:5], vcc
	s_xor_b64 s[4:5], exec, s[4:5]
	s_cbranch_execz .LBB27_304
; %bb.299:                              ;   in Loop: Header=BB27_282 Depth=1
	v_cmp_ne_u32_e32 vcc, 0, v14
	v_pk_mov_b32 v[12:13], 0, 0
	s_and_saveexec_b64 s[14:15], vcc
	s_cbranch_execz .LBB27_303
; %bb.300:                              ;   in Loop: Header=BB27_282 Depth=1
	s_mov_b64 s[16:17], 0
	v_pk_mov_b32 v[12:13], 0, 0
	s_mov_b64 s[18:19], 0
	s_mov_b64 s[20:21], 0
.LBB27_301:                             ;   Parent Loop BB27_282 Depth=1
                                        ; =>  This Inner Loop Header: Depth=2
	v_mov_b32_e32 v15, s21
	v_add_co_u32_e32 v16, vcc, s20, v6
	v_addc_co_u32_e32 v17, vcc, v7, v15, vcc
	flat_load_ubyte v15, v[16:17]
	s_add_u32 s20, s20, 1
	v_mov_b32_e32 v17, s22
	s_addc_u32 s21, s21, 0
	v_cmp_eq_u32_e32 vcc, s20, v14
	s_waitcnt vmcnt(0) lgkmcnt(0)
	v_and_b32_e32 v16, 0xffff, v15
	v_lshlrev_b64 v[16:17], s18, v[16:17]
	s_add_u32 s18, s18, 8
	s_addc_u32 s19, s19, 0
	v_or_b32_e32 v13, v17, v13
	s_or_b64 s[16:17], vcc, s[16:17]
	v_or_b32_e32 v12, v16, v12
	s_andn2_b64 exec, exec, s[16:17]
	s_cbranch_execnz .LBB27_301
; %bb.302:                              ;   in Loop: Header=BB27_282 Depth=1
	s_or_b64 exec, exec, s[16:17]
.LBB27_303:                             ;   in Loop: Header=BB27_282 Depth=1
	s_or_b64 exec, exec, s[14:15]
	s_mov_b32 s14, 0
                                        ; implicit-def: $vgpr14
.LBB27_304:                             ;   in Loop: Header=BB27_282 Depth=1
	s_or_saveexec_b64 s[4:5], s[4:5]
	v_mov_b32_e32 v16, s14
	s_xor_b64 exec, exec, s[4:5]
	s_cbranch_execz .LBB27_306
; %bb.305:                              ;   in Loop: Header=BB27_282 Depth=1
	flat_load_dwordx2 v[12:13], v[6:7]
	v_add_u32_e32 v16, -8, v14
	v_add_co_u32_e32 v6, vcc, 8, v6
	v_addc_co_u32_e32 v7, vcc, 0, v7, vcc
	s_waitcnt vmcnt(0) lgkmcnt(0)
	v_and_b32_e32 v14, 0xff, v13
	v_and_b32_e32 v15, 0xff00, v13
	;; [unrolled: 1-line block ×4, first 2 shown]
	v_or_b32_e32 v14, v14, v15
	v_or3_b32 v12, v12, 0, 0
	v_or3_b32 v13, v14, v17, v13
.LBB27_306:                             ;   in Loop: Header=BB27_282 Depth=1
	s_or_b64 exec, exec, s[4:5]
	v_cmp_gt_u32_e32 vcc, 8, v16
                                        ; implicit-def: $vgpr14_vgpr15
                                        ; implicit-def: $sgpr14
	s_and_saveexec_b64 s[4:5], vcc
	s_xor_b64 s[4:5], exec, s[4:5]
	s_cbranch_execz .LBB27_312
; %bb.307:                              ;   in Loop: Header=BB27_282 Depth=1
	v_cmp_ne_u32_e32 vcc, 0, v16
	v_pk_mov_b32 v[14:15], 0, 0
	s_and_saveexec_b64 s[14:15], vcc
	s_cbranch_execz .LBB27_311
; %bb.308:                              ;   in Loop: Header=BB27_282 Depth=1
	s_mov_b64 s[16:17], 0
	v_pk_mov_b32 v[14:15], 0, 0
	s_mov_b64 s[18:19], 0
	s_mov_b64 s[20:21], 0
.LBB27_309:                             ;   Parent Loop BB27_282 Depth=1
                                        ; =>  This Inner Loop Header: Depth=2
	v_mov_b32_e32 v17, s21
	v_add_co_u32_e32 v18, vcc, s20, v6
	v_addc_co_u32_e32 v19, vcc, v7, v17, vcc
	flat_load_ubyte v17, v[18:19]
	s_add_u32 s20, s20, 1
	v_mov_b32_e32 v19, s22
	s_addc_u32 s21, s21, 0
	v_cmp_eq_u32_e32 vcc, s20, v16
	s_waitcnt vmcnt(0) lgkmcnt(0)
	v_and_b32_e32 v18, 0xffff, v17
	v_lshlrev_b64 v[18:19], s18, v[18:19]
	s_add_u32 s18, s18, 8
	s_addc_u32 s19, s19, 0
	v_or_b32_e32 v15, v19, v15
	s_or_b64 s[16:17], vcc, s[16:17]
	v_or_b32_e32 v14, v18, v14
	s_andn2_b64 exec, exec, s[16:17]
	s_cbranch_execnz .LBB27_309
; %bb.310:                              ;   in Loop: Header=BB27_282 Depth=1
	s_or_b64 exec, exec, s[16:17]
.LBB27_311:                             ;   in Loop: Header=BB27_282 Depth=1
	s_or_b64 exec, exec, s[14:15]
	s_mov_b32 s14, 0
                                        ; implicit-def: $vgpr16
.LBB27_312:                             ;   in Loop: Header=BB27_282 Depth=1
	s_or_saveexec_b64 s[4:5], s[4:5]
	v_mov_b32_e32 v18, s14
	s_xor_b64 exec, exec, s[4:5]
	s_cbranch_execz .LBB27_314
; %bb.313:                              ;   in Loop: Header=BB27_282 Depth=1
	flat_load_dwordx2 v[14:15], v[6:7]
	v_add_u32_e32 v18, -8, v16
	v_add_co_u32_e32 v6, vcc, 8, v6
	v_addc_co_u32_e32 v7, vcc, 0, v7, vcc
	s_waitcnt vmcnt(0) lgkmcnt(0)
	v_and_b32_e32 v16, 0xff, v15
	v_and_b32_e32 v17, 0xff00, v15
	;; [unrolled: 1-line block ×4, first 2 shown]
	v_or_b32_e32 v16, v16, v17
	v_or3_b32 v14, v14, 0, 0
	v_or3_b32 v15, v16, v19, v15
.LBB27_314:                             ;   in Loop: Header=BB27_282 Depth=1
	s_or_b64 exec, exec, s[4:5]
	v_cmp_gt_u32_e32 vcc, 8, v18
                                        ; implicit-def: $sgpr14
	s_and_saveexec_b64 s[4:5], vcc
	s_xor_b64 s[4:5], exec, s[4:5]
	s_cbranch_execz .LBB27_320
; %bb.315:                              ;   in Loop: Header=BB27_282 Depth=1
	v_cmp_ne_u32_e32 vcc, 0, v18
	v_pk_mov_b32 v[16:17], 0, 0
	s_and_saveexec_b64 s[14:15], vcc
	s_cbranch_execz .LBB27_319
; %bb.316:                              ;   in Loop: Header=BB27_282 Depth=1
	s_mov_b64 s[16:17], 0
	v_pk_mov_b32 v[16:17], 0, 0
	s_mov_b64 s[18:19], 0
	s_mov_b64 s[20:21], 0
.LBB27_317:                             ;   Parent Loop BB27_282 Depth=1
                                        ; =>  This Inner Loop Header: Depth=2
	v_mov_b32_e32 v19, s21
	v_add_co_u32_e32 v20, vcc, s20, v6
	v_addc_co_u32_e32 v21, vcc, v7, v19, vcc
	flat_load_ubyte v19, v[20:21]
	s_add_u32 s20, s20, 1
	v_mov_b32_e32 v21, s22
	s_addc_u32 s21, s21, 0
	v_cmp_eq_u32_e32 vcc, s20, v18
	s_waitcnt vmcnt(0) lgkmcnt(0)
	v_and_b32_e32 v20, 0xffff, v19
	v_lshlrev_b64 v[20:21], s18, v[20:21]
	s_add_u32 s18, s18, 8
	s_addc_u32 s19, s19, 0
	v_or_b32_e32 v17, v21, v17
	s_or_b64 s[16:17], vcc, s[16:17]
	v_or_b32_e32 v16, v20, v16
	s_andn2_b64 exec, exec, s[16:17]
	s_cbranch_execnz .LBB27_317
; %bb.318:                              ;   in Loop: Header=BB27_282 Depth=1
	s_or_b64 exec, exec, s[16:17]
.LBB27_319:                             ;   in Loop: Header=BB27_282 Depth=1
	s_or_b64 exec, exec, s[14:15]
	s_mov_b32 s14, 0
                                        ; implicit-def: $vgpr18
.LBB27_320:                             ;   in Loop: Header=BB27_282 Depth=1
	s_or_saveexec_b64 s[4:5], s[4:5]
	v_mov_b32_e32 v20, s14
	s_xor_b64 exec, exec, s[4:5]
	s_cbranch_execz .LBB27_322
; %bb.321:                              ;   in Loop: Header=BB27_282 Depth=1
	flat_load_dwordx2 v[16:17], v[6:7]
	v_add_u32_e32 v20, -8, v18
	v_add_co_u32_e32 v6, vcc, 8, v6
	v_addc_co_u32_e32 v7, vcc, 0, v7, vcc
	s_waitcnt vmcnt(0) lgkmcnt(0)
	v_and_b32_e32 v18, 0xff, v17
	v_and_b32_e32 v19, 0xff00, v17
	;; [unrolled: 1-line block ×4, first 2 shown]
	v_or_b32_e32 v18, v18, v19
	v_or3_b32 v16, v16, 0, 0
	v_or3_b32 v17, v18, v21, v17
.LBB27_322:                             ;   in Loop: Header=BB27_282 Depth=1
	s_or_b64 exec, exec, s[4:5]
	v_cmp_gt_u32_e32 vcc, 8, v20
                                        ; implicit-def: $vgpr18_vgpr19
                                        ; implicit-def: $sgpr14
	s_and_saveexec_b64 s[4:5], vcc
	s_xor_b64 s[4:5], exec, s[4:5]
	s_cbranch_execz .LBB27_328
; %bb.323:                              ;   in Loop: Header=BB27_282 Depth=1
	v_cmp_ne_u32_e32 vcc, 0, v20
	v_pk_mov_b32 v[18:19], 0, 0
	s_and_saveexec_b64 s[14:15], vcc
	s_cbranch_execz .LBB27_327
; %bb.324:                              ;   in Loop: Header=BB27_282 Depth=1
	s_mov_b64 s[16:17], 0
	v_pk_mov_b32 v[18:19], 0, 0
	s_mov_b64 s[18:19], 0
	s_mov_b64 s[20:21], 0
.LBB27_325:                             ;   Parent Loop BB27_282 Depth=1
                                        ; =>  This Inner Loop Header: Depth=2
	v_mov_b32_e32 v21, s21
	v_add_co_u32_e32 v22, vcc, s20, v6
	v_addc_co_u32_e32 v23, vcc, v7, v21, vcc
	flat_load_ubyte v21, v[22:23]
	s_add_u32 s20, s20, 1
	v_mov_b32_e32 v23, s22
	s_addc_u32 s21, s21, 0
	v_cmp_eq_u32_e32 vcc, s20, v20
	s_waitcnt vmcnt(0) lgkmcnt(0)
	v_and_b32_e32 v22, 0xffff, v21
	v_lshlrev_b64 v[22:23], s18, v[22:23]
	s_add_u32 s18, s18, 8
	s_addc_u32 s19, s19, 0
	v_or_b32_e32 v19, v23, v19
	s_or_b64 s[16:17], vcc, s[16:17]
	v_or_b32_e32 v18, v22, v18
	s_andn2_b64 exec, exec, s[16:17]
	s_cbranch_execnz .LBB27_325
; %bb.326:                              ;   in Loop: Header=BB27_282 Depth=1
	s_or_b64 exec, exec, s[16:17]
.LBB27_327:                             ;   in Loop: Header=BB27_282 Depth=1
	s_or_b64 exec, exec, s[14:15]
	s_mov_b32 s14, 0
                                        ; implicit-def: $vgpr20
.LBB27_328:                             ;   in Loop: Header=BB27_282 Depth=1
	s_or_saveexec_b64 s[4:5], s[4:5]
	v_mov_b32_e32 v22, s14
	s_xor_b64 exec, exec, s[4:5]
	s_cbranch_execz .LBB27_330
; %bb.329:                              ;   in Loop: Header=BB27_282 Depth=1
	flat_load_dwordx2 v[18:19], v[6:7]
	v_add_u32_e32 v22, -8, v20
	v_add_co_u32_e32 v6, vcc, 8, v6
	v_addc_co_u32_e32 v7, vcc, 0, v7, vcc
	s_waitcnt vmcnt(0) lgkmcnt(0)
	v_and_b32_e32 v20, 0xff, v19
	v_and_b32_e32 v21, 0xff00, v19
	;; [unrolled: 1-line block ×4, first 2 shown]
	v_or_b32_e32 v20, v20, v21
	v_or3_b32 v18, v18, 0, 0
	v_or3_b32 v19, v20, v23, v19
.LBB27_330:                             ;   in Loop: Header=BB27_282 Depth=1
	s_or_b64 exec, exec, s[4:5]
	v_cmp_gt_u32_e32 vcc, 8, v22
	s_and_saveexec_b64 s[4:5], vcc
	s_xor_b64 s[4:5], exec, s[4:5]
	s_cbranch_execz .LBB27_336
; %bb.331:                              ;   in Loop: Header=BB27_282 Depth=1
	v_cmp_ne_u32_e32 vcc, 0, v22
	v_pk_mov_b32 v[20:21], 0, 0
	s_and_saveexec_b64 s[14:15], vcc
	s_cbranch_execz .LBB27_335
; %bb.332:                              ;   in Loop: Header=BB27_282 Depth=1
	s_mov_b64 s[16:17], 0
	v_pk_mov_b32 v[20:21], 0, 0
	s_mov_b64 s[18:19], 0
.LBB27_333:                             ;   Parent Loop BB27_282 Depth=1
                                        ; =>  This Inner Loop Header: Depth=2
	flat_load_ubyte v23, v[6:7]
	v_mov_b32_e32 v25, s22
	v_add_co_u32_e32 v6, vcc, 1, v6
	v_add_u32_e32 v22, -1, v22
	v_addc_co_u32_e32 v7, vcc, 0, v7, vcc
	v_cmp_eq_u32_e32 vcc, 0, v22
	s_waitcnt vmcnt(0) lgkmcnt(0)
	v_and_b32_e32 v24, 0xffff, v23
	v_lshlrev_b64 v[24:25], s18, v[24:25]
	s_add_u32 s18, s18, 8
	s_addc_u32 s19, s19, 0
	v_or_b32_e32 v21, v25, v21
	s_or_b64 s[16:17], vcc, s[16:17]
	v_or_b32_e32 v20, v24, v20
	s_andn2_b64 exec, exec, s[16:17]
	s_cbranch_execnz .LBB27_333
; %bb.334:                              ;   in Loop: Header=BB27_282 Depth=1
	s_or_b64 exec, exec, s[16:17]
.LBB27_335:                             ;   in Loop: Header=BB27_282 Depth=1
	s_or_b64 exec, exec, s[14:15]
                                        ; implicit-def: $vgpr6_vgpr7
.LBB27_336:                             ;   in Loop: Header=BB27_282 Depth=1
	s_andn2_saveexec_b64 s[4:5], s[4:5]
	s_cbranch_execz .LBB27_338
; %bb.337:                              ;   in Loop: Header=BB27_282 Depth=1
	flat_load_dwordx2 v[6:7], v[6:7]
	s_waitcnt vmcnt(0) lgkmcnt(0)
	v_and_b32_e32 v20, 0xff, v7
	v_and_b32_e32 v21, 0xff00, v7
	;; [unrolled: 1-line block ×4, first 2 shown]
	v_or_b32_e32 v20, v20, v21
	v_or3_b32 v21, v20, v22, v7
	v_or3_b32 v20, v6, 0, 0
.LBB27_338:                             ;   in Loop: Header=BB27_282 Depth=1
	s_or_b64 exec, exec, s[4:5]
	v_readfirstlane_b32 s4, v37
	v_cmp_eq_u32_e64 s[4:5], s4, v37
	v_pk_mov_b32 v[6:7], 0, 0
	s_and_saveexec_b64 s[14:15], s[4:5]
	s_cbranch_execz .LBB27_344
; %bb.339:                              ;   in Loop: Header=BB27_282 Depth=1
	global_load_dwordx2 v[24:25], v31, s[10:11] offset:24 glc
	s_waitcnt vmcnt(0)
	buffer_invl2
	buffer_wbinvl1_vol
	global_load_dwordx2 v[6:7], v31, s[10:11] offset:40
	global_load_dwordx2 v[22:23], v31, s[10:11]
	s_waitcnt vmcnt(1)
	v_and_b32_e32 v6, v6, v24
	v_and_b32_e32 v7, v7, v25
	v_mul_lo_u32 v7, v7, 24
	v_mul_hi_u32 v29, v6, 24
	v_mul_lo_u32 v6, v6, 24
	v_add_u32_e32 v7, v29, v7
	s_waitcnt vmcnt(0)
	v_add_co_u32_e32 v6, vcc, v22, v6
	v_addc_co_u32_e32 v7, vcc, v23, v7, vcc
	global_load_dwordx2 v[22:23], v[6:7], off glc
	s_waitcnt vmcnt(0)
	global_atomic_cmpswap_x2 v[6:7], v31, v[22:25], s[10:11] offset:24 glc
	s_waitcnt vmcnt(0)
	buffer_invl2
	buffer_wbinvl1_vol
	v_cmp_ne_u64_e32 vcc, v[6:7], v[24:25]
	s_and_saveexec_b64 s[16:17], vcc
	s_cbranch_execz .LBB27_343
; %bb.340:                              ;   in Loop: Header=BB27_282 Depth=1
	s_mov_b64 s[18:19], 0
.LBB27_341:                             ;   Parent Loop BB27_282 Depth=1
                                        ; =>  This Inner Loop Header: Depth=2
	s_sleep 1
	global_load_dwordx2 v[22:23], v31, s[10:11] offset:40
	global_load_dwordx2 v[34:35], v31, s[10:11]
	v_pk_mov_b32 v[24:25], v[6:7], v[6:7] op_sel:[0,1]
	s_waitcnt vmcnt(1)
	v_and_b32_e32 v6, v22, v24
	s_waitcnt vmcnt(0)
	v_mad_u64_u32 v[6:7], s[20:21], v6, 24, v[34:35]
	v_and_b32_e32 v23, v23, v25
	v_mov_b32_e32 v22, v7
	v_mad_u64_u32 v[22:23], s[20:21], v23, 24, v[22:23]
	v_mov_b32_e32 v7, v22
	global_load_dwordx2 v[22:23], v[6:7], off glc
	s_waitcnt vmcnt(0)
	global_atomic_cmpswap_x2 v[6:7], v31, v[22:25], s[10:11] offset:24 glc
	s_waitcnt vmcnt(0)
	buffer_invl2
	buffer_wbinvl1_vol
	v_cmp_eq_u64_e32 vcc, v[6:7], v[24:25]
	s_or_b64 s[18:19], vcc, s[18:19]
	s_andn2_b64 exec, exec, s[18:19]
	s_cbranch_execnz .LBB27_341
; %bb.342:                              ;   in Loop: Header=BB27_282 Depth=1
	s_or_b64 exec, exec, s[18:19]
.LBB27_343:                             ;   in Loop: Header=BB27_282 Depth=1
	s_or_b64 exec, exec, s[16:17]
.LBB27_344:                             ;   in Loop: Header=BB27_282 Depth=1
	s_or_b64 exec, exec, s[14:15]
	global_load_dwordx2 v[34:35], v31, s[10:11] offset:40
	global_load_dwordx4 v[22:25], v31, s[10:11]
	v_readfirstlane_b32 s14, v6
	v_readfirstlane_b32 s15, v7
	s_mov_b64 s[16:17], exec
	s_waitcnt vmcnt(1)
	v_readfirstlane_b32 s18, v34
	v_readfirstlane_b32 s19, v35
	s_and_b64 s[18:19], s[14:15], s[18:19]
	s_mul_i32 s20, s19, 24
	s_mul_hi_u32 s21, s18, 24
	s_mul_i32 s24, s18, 24
	s_add_i32 s20, s21, s20
	v_mov_b32_e32 v6, s20
	s_waitcnt vmcnt(0)
	v_add_co_u32_e32 v34, vcc, s24, v22
	v_addc_co_u32_e32 v35, vcc, v23, v6, vcc
	s_and_saveexec_b64 s[20:21], s[4:5]
	s_cbranch_execz .LBB27_346
; %bb.345:                              ;   in Loop: Header=BB27_282 Depth=1
	v_pk_mov_b32 v[6:7], s[16:17], s[16:17] op_sel:[0,1]
	global_store_dwordx4 v[34:35], v[6:9], off offset:8
.LBB27_346:                             ;   in Loop: Header=BB27_282 Depth=1
	s_or_b64 exec, exec, s[20:21]
	s_lshl_b64 s[16:17], s[18:19], 12
	v_mov_b32_e32 v7, s17
	v_add_co_u32_e32 v6, vcc, s16, v24
	v_addc_co_u32_e32 v7, vcc, v25, v7, vcc
	v_or_b32_e32 v24, 0, v1
	v_cmp_lt_u64_e32 vcc, 56, v[26:27]
	v_or_b32_e32 v25, v0, v28
	v_cndmask_b32_e32 v1, v24, v1, vcc
	v_lshl_add_u32 v24, v32, 2, 28
	v_cndmask_b32_e32 v0, v25, v0, vcc
	v_and_b32_e32 v24, 0x1e0, v24
	v_and_or_b32 v0, v0, s23, v24
	v_readfirstlane_b32 s16, v6
	v_readfirstlane_b32 s17, v7
	s_nop 4
	global_store_dwordx4 v36, v[0:3], s[16:17]
	global_store_dwordx4 v36, v[10:13], s[16:17] offset:16
	global_store_dwordx4 v36, v[14:17], s[16:17] offset:32
	;; [unrolled: 1-line block ×3, first 2 shown]
	s_and_saveexec_b64 s[16:17], s[4:5]
	s_cbranch_execz .LBB27_354
; %bb.347:                              ;   in Loop: Header=BB27_282 Depth=1
	global_load_dwordx2 v[14:15], v31, s[10:11] offset:32 glc
	global_load_dwordx2 v[0:1], v31, s[10:11] offset:40
	v_mov_b32_e32 v12, s14
	v_mov_b32_e32 v13, s15
	s_waitcnt vmcnt(0)
	v_readfirstlane_b32 s18, v0
	v_readfirstlane_b32 s19, v1
	s_and_b64 s[18:19], s[18:19], s[14:15]
	s_mul_i32 s19, s19, 24
	s_mul_hi_u32 s20, s18, 24
	s_mul_i32 s18, s18, 24
	s_add_i32 s19, s20, s19
	v_mov_b32_e32 v0, s19
	v_add_co_u32_e32 v10, vcc, s18, v22
	v_addc_co_u32_e32 v11, vcc, v23, v0, vcc
	global_store_dwordx2 v[10:11], v[14:15], off
	buffer_wbl2
	s_waitcnt vmcnt(0)
	global_atomic_cmpswap_x2 v[2:3], v31, v[12:15], s[10:11] offset:32 glc
	s_waitcnt vmcnt(0)
	v_cmp_ne_u64_e32 vcc, v[2:3], v[14:15]
	s_and_saveexec_b64 s[18:19], vcc
	s_cbranch_execz .LBB27_350
; %bb.348:                              ;   in Loop: Header=BB27_282 Depth=1
	s_mov_b64 s[20:21], 0
.LBB27_349:                             ;   Parent Loop BB27_282 Depth=1
                                        ; =>  This Inner Loop Header: Depth=2
	s_sleep 1
	global_store_dwordx2 v[10:11], v[2:3], off
	v_mov_b32_e32 v0, s14
	v_mov_b32_e32 v1, s15
	buffer_wbl2
	s_waitcnt vmcnt(0)
	global_atomic_cmpswap_x2 v[0:1], v31, v[0:3], s[10:11] offset:32 glc
	s_waitcnt vmcnt(0)
	v_cmp_eq_u64_e32 vcc, v[0:1], v[2:3]
	s_or_b64 s[20:21], vcc, s[20:21]
	v_pk_mov_b32 v[2:3], v[0:1], v[0:1] op_sel:[0,1]
	s_andn2_b64 exec, exec, s[20:21]
	s_cbranch_execnz .LBB27_349
.LBB27_350:                             ;   in Loop: Header=BB27_282 Depth=1
	s_or_b64 exec, exec, s[18:19]
	global_load_dwordx2 v[0:1], v31, s[10:11] offset:16
	s_mov_b64 s[20:21], exec
	v_mbcnt_lo_u32_b32 v2, s20, 0
	v_mbcnt_hi_u32_b32 v2, s21, v2
	v_cmp_eq_u32_e32 vcc, 0, v2
	s_and_saveexec_b64 s[18:19], vcc
	s_cbranch_execz .LBB27_352
; %bb.351:                              ;   in Loop: Header=BB27_282 Depth=1
	s_bcnt1_i32_b64 s20, s[20:21]
	v_mov_b32_e32 v30, s20
	buffer_wbl2
	s_waitcnt vmcnt(0)
	global_atomic_add_x2 v[0:1], v[30:31], off offset:8
.LBB27_352:                             ;   in Loop: Header=BB27_282 Depth=1
	s_or_b64 exec, exec, s[18:19]
	s_waitcnt vmcnt(0)
	global_load_dwordx2 v[2:3], v[0:1], off offset:16
	s_waitcnt vmcnt(0)
	v_cmp_eq_u64_e32 vcc, 0, v[2:3]
	s_cbranch_vccnz .LBB27_354
; %bb.353:                              ;   in Loop: Header=BB27_282 Depth=1
	global_load_dword v30, v[0:1], off offset:24
	s_waitcnt vmcnt(0)
	v_and_b32_e32 v0, 0xffffff, v30
	v_readfirstlane_b32 m0, v0
	buffer_wbl2
	global_store_dwordx2 v[2:3], v[30:31], off
	s_sendmsg sendmsg(MSG_INTERRUPT)
.LBB27_354:                             ;   in Loop: Header=BB27_282 Depth=1
	s_or_b64 exec, exec, s[16:17]
	v_add_co_u32_e32 v0, vcc, v6, v36
	v_addc_co_u32_e32 v1, vcc, 0, v7, vcc
	s_branch .LBB27_358
.LBB27_355:                             ;   in Loop: Header=BB27_358 Depth=2
	s_or_b64 exec, exec, s[16:17]
	v_readfirstlane_b32 s16, v2
	s_cmp_eq_u32 s16, 0
	s_cbranch_scc1 .LBB27_357
; %bb.356:                              ;   in Loop: Header=BB27_358 Depth=2
	s_sleep 1
	s_cbranch_execnz .LBB27_358
	s_branch .LBB27_360
.LBB27_357:                             ;   in Loop: Header=BB27_282 Depth=1
	s_branch .LBB27_360
.LBB27_358:                             ;   Parent Loop BB27_282 Depth=1
                                        ; =>  This Inner Loop Header: Depth=2
	v_mov_b32_e32 v2, 1
	s_and_saveexec_b64 s[16:17], s[4:5]
	s_cbranch_execz .LBB27_355
; %bb.359:                              ;   in Loop: Header=BB27_358 Depth=2
	global_load_dword v2, v[34:35], off offset:20 glc
	s_waitcnt vmcnt(0)
	buffer_invl2
	buffer_wbinvl1_vol
	v_and_b32_e32 v2, 1, v2
	s_branch .LBB27_355
.LBB27_360:                             ;   in Loop: Header=BB27_282 Depth=1
	global_load_dwordx4 v[0:3], v[0:1], off
	s_and_saveexec_b64 s[16:17], s[4:5]
	s_cbranch_execz .LBB27_281
; %bb.361:                              ;   in Loop: Header=BB27_282 Depth=1
	global_load_dwordx2 v[2:3], v31, s[10:11] offset:40
	global_load_dwordx2 v[6:7], v31, s[10:11] offset:24 glc
	global_load_dwordx2 v[14:15], v31, s[10:11]
	v_mov_b32_e32 v11, s15
	s_waitcnt vmcnt(2)
	v_add_co_u32_e32 v13, vcc, 1, v2
	v_addc_co_u32_e32 v16, vcc, 0, v3, vcc
	v_add_co_u32_e32 v10, vcc, s14, v13
	v_addc_co_u32_e32 v11, vcc, v16, v11, vcc
	v_cmp_eq_u64_e32 vcc, 0, v[10:11]
	v_cndmask_b32_e32 v11, v11, v16, vcc
	v_cndmask_b32_e32 v10, v10, v13, vcc
	v_and_b32_e32 v3, v11, v3
	v_and_b32_e32 v2, v10, v2
	v_mul_lo_u32 v3, v3, 24
	v_mul_hi_u32 v13, v2, 24
	v_mul_lo_u32 v2, v2, 24
	v_add_u32_e32 v3, v13, v3
	s_waitcnt vmcnt(0)
	v_add_co_u32_e32 v2, vcc, v14, v2
	v_addc_co_u32_e32 v3, vcc, v15, v3, vcc
	v_mov_b32_e32 v12, v6
	global_store_dwordx2 v[2:3], v[6:7], off
	v_mov_b32_e32 v13, v7
	buffer_wbl2
	s_waitcnt vmcnt(0)
	global_atomic_cmpswap_x2 v[12:13], v31, v[10:13], s[10:11] offset:24 glc
	s_waitcnt vmcnt(0)
	v_cmp_ne_u64_e32 vcc, v[12:13], v[6:7]
	s_and_b64 exec, exec, vcc
	s_cbranch_execz .LBB27_281
; %bb.362:                              ;   in Loop: Header=BB27_282 Depth=1
	s_mov_b64 s[4:5], 0
.LBB27_363:                             ;   Parent Loop BB27_282 Depth=1
                                        ; =>  This Inner Loop Header: Depth=2
	s_sleep 1
	global_store_dwordx2 v[2:3], v[12:13], off
	buffer_wbl2
	s_waitcnt vmcnt(0)
	global_atomic_cmpswap_x2 v[6:7], v31, v[10:13], s[10:11] offset:24 glc
	s_waitcnt vmcnt(0)
	v_cmp_eq_u64_e32 vcc, v[6:7], v[12:13]
	s_or_b64 s[4:5], vcc, s[4:5]
	v_pk_mov_b32 v[12:13], v[6:7], v[6:7] op_sel:[0,1]
	s_andn2_b64 exec, exec, s[4:5]
	s_cbranch_execnz .LBB27_363
	s_branch .LBB27_281
.LBB27_364:
	s_or_b64 exec, exec, s[6:7]
                                        ; implicit-def: $vgpr36
                                        ; implicit-def: $vgpr37
.LBB27_365:
	s_andn2_saveexec_b64 s[6:7], s[12:13]
	s_cbranch_execz .LBB27_392
; %bb.366:
	v_readfirstlane_b32 s4, v37
	v_cmp_eq_u32_e64 s[4:5], s4, v37
	v_pk_mov_b32 v[8:9], 0, 0
	s_and_saveexec_b64 s[12:13], s[4:5]
	s_cbranch_execz .LBB27_372
; %bb.367:
	s_waitcnt vmcnt(0)
	v_mov_b32_e32 v2, 0
	global_load_dwordx2 v[6:7], v2, s[10:11] offset:24 glc
	s_waitcnt vmcnt(0)
	buffer_invl2
	buffer_wbinvl1_vol
	global_load_dwordx2 v[4:5], v2, s[10:11] offset:40
	global_load_dwordx2 v[8:9], v2, s[10:11]
	s_waitcnt vmcnt(1)
	v_and_b32_e32 v3, v4, v6
	v_and_b32_e32 v4, v5, v7
	v_mul_lo_u32 v4, v4, 24
	v_mul_hi_u32 v5, v3, 24
	v_mul_lo_u32 v3, v3, 24
	v_add_u32_e32 v5, v5, v4
	s_waitcnt vmcnt(0)
	v_add_co_u32_e32 v4, vcc, v8, v3
	v_addc_co_u32_e32 v5, vcc, v9, v5, vcc
	global_load_dwordx2 v[4:5], v[4:5], off glc
	s_waitcnt vmcnt(0)
	global_atomic_cmpswap_x2 v[8:9], v2, v[4:7], s[10:11] offset:24 glc
	s_waitcnt vmcnt(0)
	buffer_invl2
	buffer_wbinvl1_vol
	v_cmp_ne_u64_e32 vcc, v[8:9], v[6:7]
	s_and_saveexec_b64 s[14:15], vcc
	s_cbranch_execz .LBB27_371
; %bb.368:
	s_mov_b64 s[16:17], 0
.LBB27_369:                             ; =>This Inner Loop Header: Depth=1
	s_sleep 1
	global_load_dwordx2 v[4:5], v2, s[10:11] offset:40
	global_load_dwordx2 v[10:11], v2, s[10:11]
	v_pk_mov_b32 v[6:7], v[8:9], v[8:9] op_sel:[0,1]
	s_waitcnt vmcnt(1)
	v_and_b32_e32 v4, v4, v6
	v_and_b32_e32 v3, v5, v7
	s_waitcnt vmcnt(0)
	v_mad_u64_u32 v[4:5], s[18:19], v4, 24, v[10:11]
	v_mov_b32_e32 v8, v5
	v_mad_u64_u32 v[8:9], s[18:19], v3, 24, v[8:9]
	v_mov_b32_e32 v5, v8
	global_load_dwordx2 v[4:5], v[4:5], off glc
	s_waitcnt vmcnt(0)
	global_atomic_cmpswap_x2 v[8:9], v2, v[4:7], s[10:11] offset:24 glc
	s_waitcnt vmcnt(0)
	buffer_invl2
	buffer_wbinvl1_vol
	v_cmp_eq_u64_e32 vcc, v[8:9], v[6:7]
	s_or_b64 s[16:17], vcc, s[16:17]
	s_andn2_b64 exec, exec, s[16:17]
	s_cbranch_execnz .LBB27_369
; %bb.370:
	s_or_b64 exec, exec, s[16:17]
.LBB27_371:
	s_or_b64 exec, exec, s[14:15]
.LBB27_372:
	s_or_b64 exec, exec, s[12:13]
	s_waitcnt vmcnt(0)
	v_mov_b32_e32 v2, 0
	global_load_dwordx2 v[10:11], v2, s[10:11] offset:40
	global_load_dwordx4 v[4:7], v2, s[10:11]
	v_readfirstlane_b32 s12, v8
	v_readfirstlane_b32 s13, v9
	s_mov_b64 s[14:15], exec
	s_waitcnt vmcnt(1)
	v_readfirstlane_b32 s16, v10
	v_readfirstlane_b32 s17, v11
	s_and_b64 s[16:17], s[12:13], s[16:17]
	s_mul_i32 s18, s17, 24
	s_mul_hi_u32 s19, s16, 24
	s_mul_i32 s20, s16, 24
	s_add_i32 s18, s19, s18
	v_mov_b32_e32 v3, s18
	s_waitcnt vmcnt(0)
	v_add_co_u32_e32 v8, vcc, s20, v4
	v_addc_co_u32_e32 v9, vcc, v5, v3, vcc
	s_and_saveexec_b64 s[18:19], s[4:5]
	s_cbranch_execz .LBB27_374
; %bb.373:
	v_pk_mov_b32 v[10:11], s[14:15], s[14:15] op_sel:[0,1]
	v_mov_b32_e32 v12, 2
	v_mov_b32_e32 v13, 1
	global_store_dwordx4 v[8:9], v[10:13], off offset:8
.LBB27_374:
	s_or_b64 exec, exec, s[18:19]
	s_lshl_b64 s[14:15], s[16:17], 12
	v_mov_b32_e32 v3, s15
	v_add_co_u32_e32 v10, vcc, s14, v6
	v_addc_co_u32_e32 v11, vcc, v7, v3, vcc
	s_movk_i32 s14, 0xff1f
	s_mov_b32 s16, 0
	v_and_or_b32 v0, v0, s14, 32
	v_mov_b32_e32 v3, v2
	v_readfirstlane_b32 s14, v10
	v_readfirstlane_b32 s15, v11
	s_mov_b32 s17, s16
	v_add_co_u32_e32 v6, vcc, v10, v36
	s_mov_b32 s18, s16
	s_mov_b32 s19, s16
	s_nop 0
	global_store_dwordx4 v36, v[0:3], s[14:15]
	v_addc_co_u32_e32 v7, vcc, 0, v11, vcc
	v_pk_mov_b32 v[0:1], s[16:17], s[16:17] op_sel:[0,1]
	v_pk_mov_b32 v[2:3], s[18:19], s[18:19] op_sel:[0,1]
	global_store_dwordx4 v36, v[0:3], s[14:15] offset:16
	global_store_dwordx4 v36, v[0:3], s[14:15] offset:32
	;; [unrolled: 1-line block ×3, first 2 shown]
	s_and_saveexec_b64 s[14:15], s[4:5]
	s_cbranch_execz .LBB27_382
; %bb.375:
	v_mov_b32_e32 v10, 0
	global_load_dwordx2 v[14:15], v10, s[10:11] offset:32 glc
	global_load_dwordx2 v[0:1], v10, s[10:11] offset:40
	v_mov_b32_e32 v12, s12
	v_mov_b32_e32 v13, s13
	s_waitcnt vmcnt(0)
	v_readfirstlane_b32 s16, v0
	v_readfirstlane_b32 s17, v1
	s_and_b64 s[16:17], s[16:17], s[12:13]
	s_mul_i32 s17, s17, 24
	s_mul_hi_u32 s18, s16, 24
	s_mul_i32 s16, s16, 24
	s_add_i32 s17, s18, s17
	v_mov_b32_e32 v0, s17
	v_add_co_u32_e32 v4, vcc, s16, v4
	v_addc_co_u32_e32 v5, vcc, v5, v0, vcc
	global_store_dwordx2 v[4:5], v[14:15], off
	buffer_wbl2
	s_waitcnt vmcnt(0)
	global_atomic_cmpswap_x2 v[2:3], v10, v[12:15], s[10:11] offset:32 glc
	s_waitcnt vmcnt(0)
	v_cmp_ne_u64_e32 vcc, v[2:3], v[14:15]
	s_and_saveexec_b64 s[16:17], vcc
	s_cbranch_execz .LBB27_378
; %bb.376:
	s_mov_b64 s[18:19], 0
.LBB27_377:                             ; =>This Inner Loop Header: Depth=1
	s_sleep 1
	global_store_dwordx2 v[4:5], v[2:3], off
	v_mov_b32_e32 v0, s12
	v_mov_b32_e32 v1, s13
	buffer_wbl2
	s_waitcnt vmcnt(0)
	global_atomic_cmpswap_x2 v[0:1], v10, v[0:3], s[10:11] offset:32 glc
	s_waitcnt vmcnt(0)
	v_cmp_eq_u64_e32 vcc, v[0:1], v[2:3]
	s_or_b64 s[18:19], vcc, s[18:19]
	v_pk_mov_b32 v[2:3], v[0:1], v[0:1] op_sel:[0,1]
	s_andn2_b64 exec, exec, s[18:19]
	s_cbranch_execnz .LBB27_377
.LBB27_378:
	s_or_b64 exec, exec, s[16:17]
	v_mov_b32_e32 v3, 0
	global_load_dwordx2 v[0:1], v3, s[10:11] offset:16
	s_mov_b64 s[16:17], exec
	v_mbcnt_lo_u32_b32 v2, s16, 0
	v_mbcnt_hi_u32_b32 v2, s17, v2
	v_cmp_eq_u32_e32 vcc, 0, v2
	s_and_saveexec_b64 s[18:19], vcc
	s_cbranch_execz .LBB27_380
; %bb.379:
	s_bcnt1_i32_b64 s16, s[16:17]
	v_mov_b32_e32 v2, s16
	buffer_wbl2
	s_waitcnt vmcnt(0)
	global_atomic_add_x2 v[0:1], v[2:3], off offset:8
.LBB27_380:
	s_or_b64 exec, exec, s[18:19]
	s_waitcnt vmcnt(0)
	global_load_dwordx2 v[2:3], v[0:1], off offset:16
	s_waitcnt vmcnt(0)
	v_cmp_eq_u64_e32 vcc, 0, v[2:3]
	s_cbranch_vccnz .LBB27_382
; %bb.381:
	global_load_dword v0, v[0:1], off offset:24
	v_mov_b32_e32 v1, 0
	buffer_wbl2
	s_waitcnt vmcnt(0)
	global_store_dwordx2 v[2:3], v[0:1], off
	v_and_b32_e32 v0, 0xffffff, v0
	v_readfirstlane_b32 m0, v0
	s_sendmsg sendmsg(MSG_INTERRUPT)
.LBB27_382:
	s_or_b64 exec, exec, s[14:15]
	s_branch .LBB27_386
.LBB27_383:                             ;   in Loop: Header=BB27_386 Depth=1
	s_or_b64 exec, exec, s[14:15]
	v_readfirstlane_b32 s14, v0
	s_cmp_eq_u32 s14, 0
	s_cbranch_scc1 .LBB27_385
; %bb.384:                              ;   in Loop: Header=BB27_386 Depth=1
	s_sleep 1
	s_cbranch_execnz .LBB27_386
	s_branch .LBB27_388
.LBB27_385:
	s_branch .LBB27_388
.LBB27_386:                             ; =>This Inner Loop Header: Depth=1
	v_mov_b32_e32 v0, 1
	s_and_saveexec_b64 s[14:15], s[4:5]
	s_cbranch_execz .LBB27_383
; %bb.387:                              ;   in Loop: Header=BB27_386 Depth=1
	global_load_dword v0, v[8:9], off offset:20 glc
	s_waitcnt vmcnt(0)
	buffer_invl2
	buffer_wbinvl1_vol
	v_and_b32_e32 v0, 1, v0
	s_branch .LBB27_383
.LBB27_388:
	global_load_dwordx2 v[0:1], v[6:7], off
	s_and_saveexec_b64 s[14:15], s[4:5]
	s_cbranch_execz .LBB27_391
; %bb.389:
	v_mov_b32_e32 v8, 0
	global_load_dwordx2 v[6:7], v8, s[10:11] offset:40
	global_load_dwordx2 v[10:11], v8, s[10:11] offset:24 glc
	global_load_dwordx2 v[12:13], v8, s[10:11]
	v_mov_b32_e32 v3, s13
	s_mov_b64 s[4:5], 0
	s_waitcnt vmcnt(2)
	v_add_co_u32_e32 v5, vcc, 1, v6
	v_addc_co_u32_e32 v9, vcc, 0, v7, vcc
	v_add_co_u32_e32 v2, vcc, s12, v5
	v_addc_co_u32_e32 v3, vcc, v9, v3, vcc
	v_cmp_eq_u64_e32 vcc, 0, v[2:3]
	v_cndmask_b32_e32 v3, v3, v9, vcc
	v_cndmask_b32_e32 v2, v2, v5, vcc
	v_and_b32_e32 v5, v3, v7
	v_and_b32_e32 v6, v2, v6
	v_mul_lo_u32 v5, v5, 24
	v_mul_hi_u32 v7, v6, 24
	v_mul_lo_u32 v6, v6, 24
	v_add_u32_e32 v5, v7, v5
	s_waitcnt vmcnt(0)
	v_add_co_u32_e32 v6, vcc, v12, v6
	v_addc_co_u32_e32 v7, vcc, v13, v5, vcc
	v_mov_b32_e32 v4, v10
	global_store_dwordx2 v[6:7], v[10:11], off
	v_mov_b32_e32 v5, v11
	buffer_wbl2
	s_waitcnt vmcnt(0)
	global_atomic_cmpswap_x2 v[4:5], v8, v[2:5], s[10:11] offset:24 glc
	s_waitcnt vmcnt(0)
	v_cmp_ne_u64_e32 vcc, v[4:5], v[10:11]
	s_and_b64 exec, exec, vcc
	s_cbranch_execz .LBB27_391
.LBB27_390:                             ; =>This Inner Loop Header: Depth=1
	s_sleep 1
	global_store_dwordx2 v[6:7], v[4:5], off
	buffer_wbl2
	s_waitcnt vmcnt(0)
	global_atomic_cmpswap_x2 v[10:11], v8, v[2:5], s[10:11] offset:24 glc
	s_waitcnt vmcnt(0)
	v_cmp_eq_u64_e32 vcc, v[10:11], v[4:5]
	s_or_b64 s[4:5], vcc, s[4:5]
	v_pk_mov_b32 v[4:5], v[10:11], v[10:11] op_sel:[0,1]
	s_andn2_b64 exec, exec, s[4:5]
	s_cbranch_execnz .LBB27_390
.LBB27_391:
	s_or_b64 exec, exec, s[14:15]
.LBB27_392:
	s_or_b64 exec, exec, s[6:7]
	s_getpc_b64 s[4:5]
	s_add_u32 s4, s4, .str@rel32@lo+4
	s_addc_u32 s5, s5, .str@rel32@hi+12
	s_getpc_b64 s[6:7]
	s_add_u32 s6, s6, .str@rel32@lo+10
	s_addc_u32 s7, s7, .str@rel32@hi+18
	s_sub_i32 s10, s6, s4
	s_ashr_i32 s11, s10, 31
	s_waitcnt vmcnt(0)
	v_mov_b32_e32 v2, s4
	v_mov_b32_e32 v3, s5
	;; [unrolled: 1-line block ×5, first 2 shown]
	s_getpc_b64 s[6:7]
	s_add_u32 s6, s6, __ockl_fprintf_append_string_n@rel32@lo+4
	s_addc_u32 s7, s7, __ockl_fprintf_append_string_n@rel32@hi+12
	s_swappc_b64 s[30:31], s[6:7]
	s_trap 2
.Lfunc_end27:
	.size	__assert_fail, .Lfunc_end27-__assert_fail
                                        ; -- End function
	.section	.AMDGPU.csdata,"",@progbits
; Function info:
; codeLenInByte = 15360
; NumSgprs: 38
; NumVgprs: 41
; NumAgprs: 0
; TotalNumVgprs: 41
; ScratchSize: 64
; MemoryBound: 0
	.section	.text._ZN4vllm18convert_fp8_kernelIhfLNS_18Fp8KVCacheDataTypeE0EEEvPKT0_PT_fl,"axG",@progbits,_ZN4vllm18convert_fp8_kernelIhfLNS_18Fp8KVCacheDataTypeE0EEEvPKT0_PT_fl,comdat
	.protected	_ZN4vllm18convert_fp8_kernelIhfLNS_18Fp8KVCacheDataTypeE0EEEvPKT0_PT_fl ; -- Begin function _ZN4vllm18convert_fp8_kernelIhfLNS_18Fp8KVCacheDataTypeE0EEEvPKT0_PT_fl
	.globl	_ZN4vllm18convert_fp8_kernelIhfLNS_18Fp8KVCacheDataTypeE0EEEvPKT0_PT_fl
	.p2align	8
	.type	_ZN4vllm18convert_fp8_kernelIhfLNS_18Fp8KVCacheDataTypeE0EEEvPKT0_PT_fl,@function
_ZN4vllm18convert_fp8_kernelIhfLNS_18Fp8KVCacheDataTypeE0EEEvPKT0_PT_fl: ; @_ZN4vllm18convert_fp8_kernelIhfLNS_18Fp8KVCacheDataTypeE0EEEvPKT0_PT_fl
; %bb.0:
	s_add_u32 flat_scratch_lo, s6, s9
	s_addc_u32 flat_scratch_hi, s7, 0
	s_load_dwordx2 s[6:7], s[4:5], 0x18
	s_add_u32 s0, s0, s9
	v_mov_b32_e32 v1, 0
	s_addc_u32 s1, s1, 0
	s_mov_b32 s32, 0
	s_waitcnt lgkmcnt(0)
	v_cmp_gt_i64_e32 vcc, s[6:7], v[0:1]
	s_and_saveexec_b64 s[6:7], vcc
	s_cbranch_execz .LBB28_2
; %bb.1:
	s_add_u32 s8, s4, 32
	s_addc_u32 s9, s5, 0
	s_getpc_b64 s[4:5]
	s_add_u32 s4, s4, __PRETTY_FUNCTION__._ZN4vllm3fp814scaled_convertIhfLNS_18Fp8KVCacheDataTypeE0EEET_RKT0_f@rel32@lo+4
	s_addc_u32 s5, s5, __PRETTY_FUNCTION__._ZN4vllm3fp814scaled_convertIhfLNS_18Fp8KVCacheDataTypeE0EEET_RKT0_f@rel32@hi+12
	v_mov_b32_e32 v0, s4
	v_mov_b32_e32 v1, s5
	s_getpc_b64 s[6:7]
	s_add_u32 s6, s6, __assert_fail@rel32@lo+4
	s_addc_u32 s7, s7, __assert_fail@rel32@hi+12
	s_swappc_b64 s[30:31], s[6:7]
	; divergent unreachable
.LBB28_2:
	s_endpgm
	.section	.rodata,"a",@progbits
	.p2align	6, 0x0
	.amdhsa_kernel _ZN4vllm18convert_fp8_kernelIhfLNS_18Fp8KVCacheDataTypeE0EEEvPKT0_PT_fl
		.amdhsa_group_segment_fixed_size 0
		.amdhsa_private_segment_fixed_size 64
		.amdhsa_kernarg_size 288
		.amdhsa_user_sgpr_count 8
		.amdhsa_user_sgpr_private_segment_buffer 1
		.amdhsa_user_sgpr_dispatch_ptr 0
		.amdhsa_user_sgpr_queue_ptr 0
		.amdhsa_user_sgpr_kernarg_segment_ptr 1
		.amdhsa_user_sgpr_dispatch_id 0
		.amdhsa_user_sgpr_flat_scratch_init 1
		.amdhsa_user_sgpr_kernarg_preload_length 0
		.amdhsa_user_sgpr_kernarg_preload_offset 0
		.amdhsa_user_sgpr_private_segment_size 0
		.amdhsa_uses_dynamic_stack 0
		.amdhsa_system_sgpr_private_segment_wavefront_offset 1
		.amdhsa_system_sgpr_workgroup_id_x 1
		.amdhsa_system_sgpr_workgroup_id_y 0
		.amdhsa_system_sgpr_workgroup_id_z 0
		.amdhsa_system_sgpr_workgroup_info 0
		.amdhsa_system_vgpr_workitem_id 0
		.amdhsa_next_free_vgpr 41
		.amdhsa_next_free_sgpr 34
		.amdhsa_accum_offset 44
		.amdhsa_reserve_vcc 1
		.amdhsa_reserve_flat_scratch 1
		.amdhsa_float_round_mode_32 0
		.amdhsa_float_round_mode_16_64 0
		.amdhsa_float_denorm_mode_32 3
		.amdhsa_float_denorm_mode_16_64 3
		.amdhsa_dx10_clamp 1
		.amdhsa_ieee_mode 1
		.amdhsa_fp16_overflow 0
		.amdhsa_tg_split 0
		.amdhsa_exception_fp_ieee_invalid_op 0
		.amdhsa_exception_fp_denorm_src 0
		.amdhsa_exception_fp_ieee_div_zero 0
		.amdhsa_exception_fp_ieee_overflow 0
		.amdhsa_exception_fp_ieee_underflow 0
		.amdhsa_exception_fp_ieee_inexact 0
		.amdhsa_exception_int_div_zero 0
	.end_amdhsa_kernel
	.section	.text._ZN4vllm18convert_fp8_kernelIhfLNS_18Fp8KVCacheDataTypeE0EEEvPKT0_PT_fl,"axG",@progbits,_ZN4vllm18convert_fp8_kernelIhfLNS_18Fp8KVCacheDataTypeE0EEEvPKT0_PT_fl,comdat
.Lfunc_end28:
	.size	_ZN4vllm18convert_fp8_kernelIhfLNS_18Fp8KVCacheDataTypeE0EEEvPKT0_PT_fl, .Lfunc_end28-_ZN4vllm18convert_fp8_kernelIhfLNS_18Fp8KVCacheDataTypeE0EEEvPKT0_PT_fl
                                        ; -- End function
	.section	.AMDGPU.csdata,"",@progbits
; Kernel info:
; codeLenInByte = 112
; NumSgprs: 40
; NumVgprs: 41
; NumAgprs: 0
; TotalNumVgprs: 41
; ScratchSize: 64
; MemoryBound: 0
; FloatMode: 240
; IeeeMode: 1
; LDSByteSize: 0 bytes/workgroup (compile time only)
; SGPRBlocks: 4
; VGPRBlocks: 5
; NumSGPRsForWavesPerEU: 40
; NumVGPRsForWavesPerEU: 41
; AccumOffset: 44
; Occupancy: 8
; WaveLimiterHint : 1
; COMPUTE_PGM_RSRC2:SCRATCH_EN: 1
; COMPUTE_PGM_RSRC2:USER_SGPR: 8
; COMPUTE_PGM_RSRC2:TRAP_HANDLER: 0
; COMPUTE_PGM_RSRC2:TGID_X_EN: 1
; COMPUTE_PGM_RSRC2:TGID_Y_EN: 0
; COMPUTE_PGM_RSRC2:TGID_Z_EN: 0
; COMPUTE_PGM_RSRC2:TIDIG_COMP_CNT: 0
; COMPUTE_PGM_RSRC3_GFX90A:ACCUM_OFFSET: 10
; COMPUTE_PGM_RSRC3_GFX90A:TG_SPLIT: 0
	.section	.text._ZN4vllm18convert_fp8_kernelIhtLNS_18Fp8KVCacheDataTypeE0EEEvPKT0_PT_fl,"axG",@progbits,_ZN4vllm18convert_fp8_kernelIhtLNS_18Fp8KVCacheDataTypeE0EEEvPKT0_PT_fl,comdat
	.protected	_ZN4vllm18convert_fp8_kernelIhtLNS_18Fp8KVCacheDataTypeE0EEEvPKT0_PT_fl ; -- Begin function _ZN4vllm18convert_fp8_kernelIhtLNS_18Fp8KVCacheDataTypeE0EEEvPKT0_PT_fl
	.globl	_ZN4vllm18convert_fp8_kernelIhtLNS_18Fp8KVCacheDataTypeE0EEEvPKT0_PT_fl
	.p2align	8
	.type	_ZN4vllm18convert_fp8_kernelIhtLNS_18Fp8KVCacheDataTypeE0EEEvPKT0_PT_fl,@function
_ZN4vllm18convert_fp8_kernelIhtLNS_18Fp8KVCacheDataTypeE0EEEvPKT0_PT_fl: ; @_ZN4vllm18convert_fp8_kernelIhtLNS_18Fp8KVCacheDataTypeE0EEEvPKT0_PT_fl
; %bb.0:
	s_add_u32 flat_scratch_lo, s6, s9
	s_addc_u32 flat_scratch_hi, s7, 0
	s_load_dwordx2 s[6:7], s[4:5], 0x18
	s_add_u32 s0, s0, s9
	v_mov_b32_e32 v1, 0
	s_addc_u32 s1, s1, 0
	s_mov_b32 s32, 0
	s_waitcnt lgkmcnt(0)
	v_cmp_gt_i64_e32 vcc, s[6:7], v[0:1]
	s_and_saveexec_b64 s[6:7], vcc
	s_cbranch_execz .LBB29_2
; %bb.1:
	s_add_u32 s8, s4, 32
	s_addc_u32 s9, s5, 0
	s_getpc_b64 s[4:5]
	s_add_u32 s4, s4, __PRETTY_FUNCTION__._ZN4vllm3fp814scaled_convertIhtLNS_18Fp8KVCacheDataTypeE0EEET_RKT0_f@rel32@lo+4
	s_addc_u32 s5, s5, __PRETTY_FUNCTION__._ZN4vllm3fp814scaled_convertIhtLNS_18Fp8KVCacheDataTypeE0EEET_RKT0_f@rel32@hi+12
	v_mov_b32_e32 v0, s4
	v_mov_b32_e32 v1, s5
	s_getpc_b64 s[6:7]
	s_add_u32 s6, s6, __assert_fail@rel32@lo+4
	s_addc_u32 s7, s7, __assert_fail@rel32@hi+12
	s_swappc_b64 s[30:31], s[6:7]
	; divergent unreachable
.LBB29_2:
	s_endpgm
	.section	.rodata,"a",@progbits
	.p2align	6, 0x0
	.amdhsa_kernel _ZN4vllm18convert_fp8_kernelIhtLNS_18Fp8KVCacheDataTypeE0EEEvPKT0_PT_fl
		.amdhsa_group_segment_fixed_size 0
		.amdhsa_private_segment_fixed_size 64
		.amdhsa_kernarg_size 288
		.amdhsa_user_sgpr_count 8
		.amdhsa_user_sgpr_private_segment_buffer 1
		.amdhsa_user_sgpr_dispatch_ptr 0
		.amdhsa_user_sgpr_queue_ptr 0
		.amdhsa_user_sgpr_kernarg_segment_ptr 1
		.amdhsa_user_sgpr_dispatch_id 0
		.amdhsa_user_sgpr_flat_scratch_init 1
		.amdhsa_user_sgpr_kernarg_preload_length 0
		.amdhsa_user_sgpr_kernarg_preload_offset 0
		.amdhsa_user_sgpr_private_segment_size 0
		.amdhsa_uses_dynamic_stack 0
		.amdhsa_system_sgpr_private_segment_wavefront_offset 1
		.amdhsa_system_sgpr_workgroup_id_x 1
		.amdhsa_system_sgpr_workgroup_id_y 0
		.amdhsa_system_sgpr_workgroup_id_z 0
		.amdhsa_system_sgpr_workgroup_info 0
		.amdhsa_system_vgpr_workitem_id 0
		.amdhsa_next_free_vgpr 41
		.amdhsa_next_free_sgpr 34
		.amdhsa_accum_offset 44
		.amdhsa_reserve_vcc 1
		.amdhsa_reserve_flat_scratch 1
		.amdhsa_float_round_mode_32 0
		.amdhsa_float_round_mode_16_64 0
		.amdhsa_float_denorm_mode_32 3
		.amdhsa_float_denorm_mode_16_64 3
		.amdhsa_dx10_clamp 1
		.amdhsa_ieee_mode 1
		.amdhsa_fp16_overflow 0
		.amdhsa_tg_split 0
		.amdhsa_exception_fp_ieee_invalid_op 0
		.amdhsa_exception_fp_denorm_src 0
		.amdhsa_exception_fp_ieee_div_zero 0
		.amdhsa_exception_fp_ieee_overflow 0
		.amdhsa_exception_fp_ieee_underflow 0
		.amdhsa_exception_fp_ieee_inexact 0
		.amdhsa_exception_int_div_zero 0
	.end_amdhsa_kernel
	.section	.text._ZN4vllm18convert_fp8_kernelIhtLNS_18Fp8KVCacheDataTypeE0EEEvPKT0_PT_fl,"axG",@progbits,_ZN4vllm18convert_fp8_kernelIhtLNS_18Fp8KVCacheDataTypeE0EEEvPKT0_PT_fl,comdat
.Lfunc_end29:
	.size	_ZN4vllm18convert_fp8_kernelIhtLNS_18Fp8KVCacheDataTypeE0EEEvPKT0_PT_fl, .Lfunc_end29-_ZN4vllm18convert_fp8_kernelIhtLNS_18Fp8KVCacheDataTypeE0EEEvPKT0_PT_fl
                                        ; -- End function
	.section	.AMDGPU.csdata,"",@progbits
; Kernel info:
; codeLenInByte = 112
; NumSgprs: 40
; NumVgprs: 41
; NumAgprs: 0
; TotalNumVgprs: 41
; ScratchSize: 64
; MemoryBound: 0
; FloatMode: 240
; IeeeMode: 1
; LDSByteSize: 0 bytes/workgroup (compile time only)
; SGPRBlocks: 4
; VGPRBlocks: 5
; NumSGPRsForWavesPerEU: 40
; NumVGPRsForWavesPerEU: 41
; AccumOffset: 44
; Occupancy: 8
; WaveLimiterHint : 1
; COMPUTE_PGM_RSRC2:SCRATCH_EN: 1
; COMPUTE_PGM_RSRC2:USER_SGPR: 8
; COMPUTE_PGM_RSRC2:TRAP_HANDLER: 0
; COMPUTE_PGM_RSRC2:TGID_X_EN: 1
; COMPUTE_PGM_RSRC2:TGID_Y_EN: 0
; COMPUTE_PGM_RSRC2:TGID_Z_EN: 0
; COMPUTE_PGM_RSRC2:TIDIG_COMP_CNT: 0
; COMPUTE_PGM_RSRC3_GFX90A:ACCUM_OFFSET: 10
; COMPUTE_PGM_RSRC3_GFX90A:TG_SPLIT: 0
	.section	.text._ZN4vllm18convert_fp8_kernelIh14__hip_bfloat16LNS_18Fp8KVCacheDataTypeE0EEEvPKT0_PT_fl,"axG",@progbits,_ZN4vllm18convert_fp8_kernelIh14__hip_bfloat16LNS_18Fp8KVCacheDataTypeE0EEEvPKT0_PT_fl,comdat
	.protected	_ZN4vllm18convert_fp8_kernelIh14__hip_bfloat16LNS_18Fp8KVCacheDataTypeE0EEEvPKT0_PT_fl ; -- Begin function _ZN4vllm18convert_fp8_kernelIh14__hip_bfloat16LNS_18Fp8KVCacheDataTypeE0EEEvPKT0_PT_fl
	.globl	_ZN4vllm18convert_fp8_kernelIh14__hip_bfloat16LNS_18Fp8KVCacheDataTypeE0EEEvPKT0_PT_fl
	.p2align	8
	.type	_ZN4vllm18convert_fp8_kernelIh14__hip_bfloat16LNS_18Fp8KVCacheDataTypeE0EEEvPKT0_PT_fl,@function
_ZN4vllm18convert_fp8_kernelIh14__hip_bfloat16LNS_18Fp8KVCacheDataTypeE0EEEvPKT0_PT_fl: ; @_ZN4vllm18convert_fp8_kernelIh14__hip_bfloat16LNS_18Fp8KVCacheDataTypeE0EEEvPKT0_PT_fl
; %bb.0:
	s_add_u32 flat_scratch_lo, s6, s9
	s_addc_u32 flat_scratch_hi, s7, 0
	s_load_dwordx2 s[6:7], s[4:5], 0x18
	s_add_u32 s0, s0, s9
	v_mov_b32_e32 v1, 0
	s_addc_u32 s1, s1, 0
	s_mov_b32 s32, 0
	s_waitcnt lgkmcnt(0)
	v_cmp_gt_i64_e32 vcc, s[6:7], v[0:1]
	s_and_saveexec_b64 s[6:7], vcc
	s_cbranch_execz .LBB30_2
; %bb.1:
	s_add_u32 s8, s4, 32
	s_addc_u32 s9, s5, 0
	s_getpc_b64 s[4:5]
	s_add_u32 s4, s4, __PRETTY_FUNCTION__._ZN4vllm3fp814scaled_convertIh14__hip_bfloat16LNS_18Fp8KVCacheDataTypeE0EEET_RKT0_f@rel32@lo+4
	s_addc_u32 s5, s5, __PRETTY_FUNCTION__._ZN4vllm3fp814scaled_convertIh14__hip_bfloat16LNS_18Fp8KVCacheDataTypeE0EEET_RKT0_f@rel32@hi+12
	v_mov_b32_e32 v0, s4
	v_mov_b32_e32 v1, s5
	s_getpc_b64 s[6:7]
	s_add_u32 s6, s6, __assert_fail@rel32@lo+4
	s_addc_u32 s7, s7, __assert_fail@rel32@hi+12
	s_swappc_b64 s[30:31], s[6:7]
	; divergent unreachable
.LBB30_2:
	s_endpgm
	.section	.rodata,"a",@progbits
	.p2align	6, 0x0
	.amdhsa_kernel _ZN4vllm18convert_fp8_kernelIh14__hip_bfloat16LNS_18Fp8KVCacheDataTypeE0EEEvPKT0_PT_fl
		.amdhsa_group_segment_fixed_size 0
		.amdhsa_private_segment_fixed_size 64
		.amdhsa_kernarg_size 288
		.amdhsa_user_sgpr_count 8
		.amdhsa_user_sgpr_private_segment_buffer 1
		.amdhsa_user_sgpr_dispatch_ptr 0
		.amdhsa_user_sgpr_queue_ptr 0
		.amdhsa_user_sgpr_kernarg_segment_ptr 1
		.amdhsa_user_sgpr_dispatch_id 0
		.amdhsa_user_sgpr_flat_scratch_init 1
		.amdhsa_user_sgpr_kernarg_preload_length 0
		.amdhsa_user_sgpr_kernarg_preload_offset 0
		.amdhsa_user_sgpr_private_segment_size 0
		.amdhsa_uses_dynamic_stack 0
		.amdhsa_system_sgpr_private_segment_wavefront_offset 1
		.amdhsa_system_sgpr_workgroup_id_x 1
		.amdhsa_system_sgpr_workgroup_id_y 0
		.amdhsa_system_sgpr_workgroup_id_z 0
		.amdhsa_system_sgpr_workgroup_info 0
		.amdhsa_system_vgpr_workitem_id 0
		.amdhsa_next_free_vgpr 41
		.amdhsa_next_free_sgpr 34
		.amdhsa_accum_offset 44
		.amdhsa_reserve_vcc 1
		.amdhsa_reserve_flat_scratch 1
		.amdhsa_float_round_mode_32 0
		.amdhsa_float_round_mode_16_64 0
		.amdhsa_float_denorm_mode_32 3
		.amdhsa_float_denorm_mode_16_64 3
		.amdhsa_dx10_clamp 1
		.amdhsa_ieee_mode 1
		.amdhsa_fp16_overflow 0
		.amdhsa_tg_split 0
		.amdhsa_exception_fp_ieee_invalid_op 0
		.amdhsa_exception_fp_denorm_src 0
		.amdhsa_exception_fp_ieee_div_zero 0
		.amdhsa_exception_fp_ieee_overflow 0
		.amdhsa_exception_fp_ieee_underflow 0
		.amdhsa_exception_fp_ieee_inexact 0
		.amdhsa_exception_int_div_zero 0
	.end_amdhsa_kernel
	.section	.text._ZN4vllm18convert_fp8_kernelIh14__hip_bfloat16LNS_18Fp8KVCacheDataTypeE0EEEvPKT0_PT_fl,"axG",@progbits,_ZN4vllm18convert_fp8_kernelIh14__hip_bfloat16LNS_18Fp8KVCacheDataTypeE0EEEvPKT0_PT_fl,comdat
.Lfunc_end30:
	.size	_ZN4vllm18convert_fp8_kernelIh14__hip_bfloat16LNS_18Fp8KVCacheDataTypeE0EEEvPKT0_PT_fl, .Lfunc_end30-_ZN4vllm18convert_fp8_kernelIh14__hip_bfloat16LNS_18Fp8KVCacheDataTypeE0EEEvPKT0_PT_fl
                                        ; -- End function
	.section	.AMDGPU.csdata,"",@progbits
; Kernel info:
; codeLenInByte = 112
; NumSgprs: 40
; NumVgprs: 41
; NumAgprs: 0
; TotalNumVgprs: 41
; ScratchSize: 64
; MemoryBound: 0
; FloatMode: 240
; IeeeMode: 1
; LDSByteSize: 0 bytes/workgroup (compile time only)
; SGPRBlocks: 4
; VGPRBlocks: 5
; NumSGPRsForWavesPerEU: 40
; NumVGPRsForWavesPerEU: 41
; AccumOffset: 44
; Occupancy: 8
; WaveLimiterHint : 1
; COMPUTE_PGM_RSRC2:SCRATCH_EN: 1
; COMPUTE_PGM_RSRC2:USER_SGPR: 8
; COMPUTE_PGM_RSRC2:TRAP_HANDLER: 0
; COMPUTE_PGM_RSRC2:TGID_X_EN: 1
; COMPUTE_PGM_RSRC2:TGID_Y_EN: 0
; COMPUTE_PGM_RSRC2:TGID_Z_EN: 0
; COMPUTE_PGM_RSRC2:TIDIG_COMP_CNT: 0
; COMPUTE_PGM_RSRC3_GFX90A:ACCUM_OFFSET: 10
; COMPUTE_PGM_RSRC3_GFX90A:TG_SPLIT: 0
	.section	.text._ZN4vllm18convert_fp8_kernelIfhLNS_18Fp8KVCacheDataTypeE0EEEvPKT0_PT_fl,"axG",@progbits,_ZN4vllm18convert_fp8_kernelIfhLNS_18Fp8KVCacheDataTypeE0EEEvPKT0_PT_fl,comdat
	.protected	_ZN4vllm18convert_fp8_kernelIfhLNS_18Fp8KVCacheDataTypeE0EEEvPKT0_PT_fl ; -- Begin function _ZN4vllm18convert_fp8_kernelIfhLNS_18Fp8KVCacheDataTypeE0EEEvPKT0_PT_fl
	.globl	_ZN4vllm18convert_fp8_kernelIfhLNS_18Fp8KVCacheDataTypeE0EEEvPKT0_PT_fl
	.p2align	8
	.type	_ZN4vllm18convert_fp8_kernelIfhLNS_18Fp8KVCacheDataTypeE0EEEvPKT0_PT_fl,@function
_ZN4vllm18convert_fp8_kernelIfhLNS_18Fp8KVCacheDataTypeE0EEEvPKT0_PT_fl: ; @_ZN4vllm18convert_fp8_kernelIfhLNS_18Fp8KVCacheDataTypeE0EEEvPKT0_PT_fl
; %bb.0:
	s_add_u32 flat_scratch_lo, s6, s9
	s_addc_u32 flat_scratch_hi, s7, 0
	s_load_dwordx2 s[6:7], s[4:5], 0x18
	s_add_u32 s0, s0, s9
	v_mov_b32_e32 v1, 0
	s_addc_u32 s1, s1, 0
	s_mov_b32 s32, 0
	s_waitcnt lgkmcnt(0)
	v_cmp_gt_i64_e32 vcc, s[6:7], v[0:1]
	s_and_saveexec_b64 s[6:7], vcc
	s_cbranch_execz .LBB31_2
; %bb.1:
	s_add_u32 s8, s4, 32
	s_addc_u32 s9, s5, 0
	s_getpc_b64 s[4:5]
	s_add_u32 s4, s4, __PRETTY_FUNCTION__._ZN4vllm3fp814scaled_convertIfhLNS_18Fp8KVCacheDataTypeE0EEET_RKT0_f@rel32@lo+4
	s_addc_u32 s5, s5, __PRETTY_FUNCTION__._ZN4vllm3fp814scaled_convertIfhLNS_18Fp8KVCacheDataTypeE0EEET_RKT0_f@rel32@hi+12
	v_mov_b32_e32 v0, s4
	v_mov_b32_e32 v1, s5
	s_getpc_b64 s[6:7]
	s_add_u32 s6, s6, __assert_fail@rel32@lo+4
	s_addc_u32 s7, s7, __assert_fail@rel32@hi+12
	s_swappc_b64 s[30:31], s[6:7]
	; divergent unreachable
.LBB31_2:
	s_endpgm
	.section	.rodata,"a",@progbits
	.p2align	6, 0x0
	.amdhsa_kernel _ZN4vllm18convert_fp8_kernelIfhLNS_18Fp8KVCacheDataTypeE0EEEvPKT0_PT_fl
		.amdhsa_group_segment_fixed_size 0
		.amdhsa_private_segment_fixed_size 64
		.amdhsa_kernarg_size 288
		.amdhsa_user_sgpr_count 8
		.amdhsa_user_sgpr_private_segment_buffer 1
		.amdhsa_user_sgpr_dispatch_ptr 0
		.amdhsa_user_sgpr_queue_ptr 0
		.amdhsa_user_sgpr_kernarg_segment_ptr 1
		.amdhsa_user_sgpr_dispatch_id 0
		.amdhsa_user_sgpr_flat_scratch_init 1
		.amdhsa_user_sgpr_kernarg_preload_length 0
		.amdhsa_user_sgpr_kernarg_preload_offset 0
		.amdhsa_user_sgpr_private_segment_size 0
		.amdhsa_uses_dynamic_stack 0
		.amdhsa_system_sgpr_private_segment_wavefront_offset 1
		.amdhsa_system_sgpr_workgroup_id_x 1
		.amdhsa_system_sgpr_workgroup_id_y 0
		.amdhsa_system_sgpr_workgroup_id_z 0
		.amdhsa_system_sgpr_workgroup_info 0
		.amdhsa_system_vgpr_workitem_id 0
		.amdhsa_next_free_vgpr 41
		.amdhsa_next_free_sgpr 34
		.amdhsa_accum_offset 44
		.amdhsa_reserve_vcc 1
		.amdhsa_reserve_flat_scratch 1
		.amdhsa_float_round_mode_32 0
		.amdhsa_float_round_mode_16_64 0
		.amdhsa_float_denorm_mode_32 3
		.amdhsa_float_denorm_mode_16_64 3
		.amdhsa_dx10_clamp 1
		.amdhsa_ieee_mode 1
		.amdhsa_fp16_overflow 0
		.amdhsa_tg_split 0
		.amdhsa_exception_fp_ieee_invalid_op 0
		.amdhsa_exception_fp_denorm_src 0
		.amdhsa_exception_fp_ieee_div_zero 0
		.amdhsa_exception_fp_ieee_overflow 0
		.amdhsa_exception_fp_ieee_underflow 0
		.amdhsa_exception_fp_ieee_inexact 0
		.amdhsa_exception_int_div_zero 0
	.end_amdhsa_kernel
	.section	.text._ZN4vllm18convert_fp8_kernelIfhLNS_18Fp8KVCacheDataTypeE0EEEvPKT0_PT_fl,"axG",@progbits,_ZN4vllm18convert_fp8_kernelIfhLNS_18Fp8KVCacheDataTypeE0EEEvPKT0_PT_fl,comdat
.Lfunc_end31:
	.size	_ZN4vllm18convert_fp8_kernelIfhLNS_18Fp8KVCacheDataTypeE0EEEvPKT0_PT_fl, .Lfunc_end31-_ZN4vllm18convert_fp8_kernelIfhLNS_18Fp8KVCacheDataTypeE0EEEvPKT0_PT_fl
                                        ; -- End function
	.section	.AMDGPU.csdata,"",@progbits
; Kernel info:
; codeLenInByte = 112
; NumSgprs: 40
; NumVgprs: 41
; NumAgprs: 0
; TotalNumVgprs: 41
; ScratchSize: 64
; MemoryBound: 0
; FloatMode: 240
; IeeeMode: 1
; LDSByteSize: 0 bytes/workgroup (compile time only)
; SGPRBlocks: 4
; VGPRBlocks: 5
; NumSGPRsForWavesPerEU: 40
; NumVGPRsForWavesPerEU: 41
; AccumOffset: 44
; Occupancy: 8
; WaveLimiterHint : 1
; COMPUTE_PGM_RSRC2:SCRATCH_EN: 1
; COMPUTE_PGM_RSRC2:USER_SGPR: 8
; COMPUTE_PGM_RSRC2:TRAP_HANDLER: 0
; COMPUTE_PGM_RSRC2:TGID_X_EN: 1
; COMPUTE_PGM_RSRC2:TGID_Y_EN: 0
; COMPUTE_PGM_RSRC2:TGID_Z_EN: 0
; COMPUTE_PGM_RSRC2:TIDIG_COMP_CNT: 0
; COMPUTE_PGM_RSRC3_GFX90A:ACCUM_OFFSET: 10
; COMPUTE_PGM_RSRC3_GFX90A:TG_SPLIT: 0
	.section	.text._ZN4vllm18convert_fp8_kernelIthLNS_18Fp8KVCacheDataTypeE0EEEvPKT0_PT_fl,"axG",@progbits,_ZN4vllm18convert_fp8_kernelIthLNS_18Fp8KVCacheDataTypeE0EEEvPKT0_PT_fl,comdat
	.protected	_ZN4vllm18convert_fp8_kernelIthLNS_18Fp8KVCacheDataTypeE0EEEvPKT0_PT_fl ; -- Begin function _ZN4vllm18convert_fp8_kernelIthLNS_18Fp8KVCacheDataTypeE0EEEvPKT0_PT_fl
	.globl	_ZN4vllm18convert_fp8_kernelIthLNS_18Fp8KVCacheDataTypeE0EEEvPKT0_PT_fl
	.p2align	8
	.type	_ZN4vllm18convert_fp8_kernelIthLNS_18Fp8KVCacheDataTypeE0EEEvPKT0_PT_fl,@function
_ZN4vllm18convert_fp8_kernelIthLNS_18Fp8KVCacheDataTypeE0EEEvPKT0_PT_fl: ; @_ZN4vllm18convert_fp8_kernelIthLNS_18Fp8KVCacheDataTypeE0EEEvPKT0_PT_fl
; %bb.0:
	s_add_u32 flat_scratch_lo, s6, s9
	s_addc_u32 flat_scratch_hi, s7, 0
	s_load_dwordx2 s[6:7], s[4:5], 0x18
	s_add_u32 s0, s0, s9
	v_mov_b32_e32 v1, 0
	s_addc_u32 s1, s1, 0
	s_mov_b32 s32, 0
	s_waitcnt lgkmcnt(0)
	v_cmp_gt_i64_e32 vcc, s[6:7], v[0:1]
	s_and_saveexec_b64 s[6:7], vcc
	s_cbranch_execz .LBB32_2
; %bb.1:
	s_add_u32 s8, s4, 32
	s_addc_u32 s9, s5, 0
	s_getpc_b64 s[4:5]
	s_add_u32 s4, s4, __PRETTY_FUNCTION__._ZN4vllm3fp814scaled_convertIthLNS_18Fp8KVCacheDataTypeE0EEET_RKT0_f@rel32@lo+4
	s_addc_u32 s5, s5, __PRETTY_FUNCTION__._ZN4vllm3fp814scaled_convertIthLNS_18Fp8KVCacheDataTypeE0EEET_RKT0_f@rel32@hi+12
	v_mov_b32_e32 v0, s4
	v_mov_b32_e32 v1, s5
	s_getpc_b64 s[6:7]
	s_add_u32 s6, s6, __assert_fail@rel32@lo+4
	s_addc_u32 s7, s7, __assert_fail@rel32@hi+12
	s_swappc_b64 s[30:31], s[6:7]
	; divergent unreachable
.LBB32_2:
	s_endpgm
	.section	.rodata,"a",@progbits
	.p2align	6, 0x0
	.amdhsa_kernel _ZN4vllm18convert_fp8_kernelIthLNS_18Fp8KVCacheDataTypeE0EEEvPKT0_PT_fl
		.amdhsa_group_segment_fixed_size 0
		.amdhsa_private_segment_fixed_size 64
		.amdhsa_kernarg_size 288
		.amdhsa_user_sgpr_count 8
		.amdhsa_user_sgpr_private_segment_buffer 1
		.amdhsa_user_sgpr_dispatch_ptr 0
		.amdhsa_user_sgpr_queue_ptr 0
		.amdhsa_user_sgpr_kernarg_segment_ptr 1
		.amdhsa_user_sgpr_dispatch_id 0
		.amdhsa_user_sgpr_flat_scratch_init 1
		.amdhsa_user_sgpr_kernarg_preload_length 0
		.amdhsa_user_sgpr_kernarg_preload_offset 0
		.amdhsa_user_sgpr_private_segment_size 0
		.amdhsa_uses_dynamic_stack 0
		.amdhsa_system_sgpr_private_segment_wavefront_offset 1
		.amdhsa_system_sgpr_workgroup_id_x 1
		.amdhsa_system_sgpr_workgroup_id_y 0
		.amdhsa_system_sgpr_workgroup_id_z 0
		.amdhsa_system_sgpr_workgroup_info 0
		.amdhsa_system_vgpr_workitem_id 0
		.amdhsa_next_free_vgpr 41
		.amdhsa_next_free_sgpr 34
		.amdhsa_accum_offset 44
		.amdhsa_reserve_vcc 1
		.amdhsa_reserve_flat_scratch 1
		.amdhsa_float_round_mode_32 0
		.amdhsa_float_round_mode_16_64 0
		.amdhsa_float_denorm_mode_32 3
		.amdhsa_float_denorm_mode_16_64 3
		.amdhsa_dx10_clamp 1
		.amdhsa_ieee_mode 1
		.amdhsa_fp16_overflow 0
		.amdhsa_tg_split 0
		.amdhsa_exception_fp_ieee_invalid_op 0
		.amdhsa_exception_fp_denorm_src 0
		.amdhsa_exception_fp_ieee_div_zero 0
		.amdhsa_exception_fp_ieee_overflow 0
		.amdhsa_exception_fp_ieee_underflow 0
		.amdhsa_exception_fp_ieee_inexact 0
		.amdhsa_exception_int_div_zero 0
	.end_amdhsa_kernel
	.section	.text._ZN4vllm18convert_fp8_kernelIthLNS_18Fp8KVCacheDataTypeE0EEEvPKT0_PT_fl,"axG",@progbits,_ZN4vllm18convert_fp8_kernelIthLNS_18Fp8KVCacheDataTypeE0EEEvPKT0_PT_fl,comdat
.Lfunc_end32:
	.size	_ZN4vllm18convert_fp8_kernelIthLNS_18Fp8KVCacheDataTypeE0EEEvPKT0_PT_fl, .Lfunc_end32-_ZN4vllm18convert_fp8_kernelIthLNS_18Fp8KVCacheDataTypeE0EEEvPKT0_PT_fl
                                        ; -- End function
	.section	.AMDGPU.csdata,"",@progbits
; Kernel info:
; codeLenInByte = 112
; NumSgprs: 40
; NumVgprs: 41
; NumAgprs: 0
; TotalNumVgprs: 41
; ScratchSize: 64
; MemoryBound: 0
; FloatMode: 240
; IeeeMode: 1
; LDSByteSize: 0 bytes/workgroup (compile time only)
; SGPRBlocks: 4
; VGPRBlocks: 5
; NumSGPRsForWavesPerEU: 40
; NumVGPRsForWavesPerEU: 41
; AccumOffset: 44
; Occupancy: 8
; WaveLimiterHint : 1
; COMPUTE_PGM_RSRC2:SCRATCH_EN: 1
; COMPUTE_PGM_RSRC2:USER_SGPR: 8
; COMPUTE_PGM_RSRC2:TRAP_HANDLER: 0
; COMPUTE_PGM_RSRC2:TGID_X_EN: 1
; COMPUTE_PGM_RSRC2:TGID_Y_EN: 0
; COMPUTE_PGM_RSRC2:TGID_Z_EN: 0
; COMPUTE_PGM_RSRC2:TIDIG_COMP_CNT: 0
; COMPUTE_PGM_RSRC3_GFX90A:ACCUM_OFFSET: 10
; COMPUTE_PGM_RSRC3_GFX90A:TG_SPLIT: 0
	.section	.text._ZN4vllm18convert_fp8_kernelI14__hip_bfloat16hLNS_18Fp8KVCacheDataTypeE0EEEvPKT0_PT_fl,"axG",@progbits,_ZN4vllm18convert_fp8_kernelI14__hip_bfloat16hLNS_18Fp8KVCacheDataTypeE0EEEvPKT0_PT_fl,comdat
	.protected	_ZN4vllm18convert_fp8_kernelI14__hip_bfloat16hLNS_18Fp8KVCacheDataTypeE0EEEvPKT0_PT_fl ; -- Begin function _ZN4vllm18convert_fp8_kernelI14__hip_bfloat16hLNS_18Fp8KVCacheDataTypeE0EEEvPKT0_PT_fl
	.globl	_ZN4vllm18convert_fp8_kernelI14__hip_bfloat16hLNS_18Fp8KVCacheDataTypeE0EEEvPKT0_PT_fl
	.p2align	8
	.type	_ZN4vllm18convert_fp8_kernelI14__hip_bfloat16hLNS_18Fp8KVCacheDataTypeE0EEEvPKT0_PT_fl,@function
_ZN4vllm18convert_fp8_kernelI14__hip_bfloat16hLNS_18Fp8KVCacheDataTypeE0EEEvPKT0_PT_fl: ; @_ZN4vllm18convert_fp8_kernelI14__hip_bfloat16hLNS_18Fp8KVCacheDataTypeE0EEEvPKT0_PT_fl
; %bb.0:
	s_add_u32 flat_scratch_lo, s6, s9
	s_addc_u32 flat_scratch_hi, s7, 0
	s_load_dwordx2 s[6:7], s[4:5], 0x18
	s_add_u32 s0, s0, s9
	v_mov_b32_e32 v1, 0
	s_addc_u32 s1, s1, 0
	s_mov_b32 s32, 0
	s_waitcnt lgkmcnt(0)
	v_cmp_gt_i64_e32 vcc, s[6:7], v[0:1]
	s_and_saveexec_b64 s[6:7], vcc
	s_cbranch_execz .LBB33_2
; %bb.1:
	s_add_u32 s8, s4, 32
	s_addc_u32 s9, s5, 0
	s_getpc_b64 s[4:5]
	s_add_u32 s4, s4, __PRETTY_FUNCTION__._ZN4vllm3fp814scaled_convertI14__hip_bfloat16hLNS_18Fp8KVCacheDataTypeE0EEET_RKT0_f@rel32@lo+4
	s_addc_u32 s5, s5, __PRETTY_FUNCTION__._ZN4vllm3fp814scaled_convertI14__hip_bfloat16hLNS_18Fp8KVCacheDataTypeE0EEET_RKT0_f@rel32@hi+12
	v_mov_b32_e32 v0, s4
	v_mov_b32_e32 v1, s5
	s_getpc_b64 s[6:7]
	s_add_u32 s6, s6, __assert_fail@rel32@lo+4
	s_addc_u32 s7, s7, __assert_fail@rel32@hi+12
	s_swappc_b64 s[30:31], s[6:7]
	; divergent unreachable
.LBB33_2:
	s_endpgm
	.section	.rodata,"a",@progbits
	.p2align	6, 0x0
	.amdhsa_kernel _ZN4vllm18convert_fp8_kernelI14__hip_bfloat16hLNS_18Fp8KVCacheDataTypeE0EEEvPKT0_PT_fl
		.amdhsa_group_segment_fixed_size 0
		.amdhsa_private_segment_fixed_size 64
		.amdhsa_kernarg_size 288
		.amdhsa_user_sgpr_count 8
		.amdhsa_user_sgpr_private_segment_buffer 1
		.amdhsa_user_sgpr_dispatch_ptr 0
		.amdhsa_user_sgpr_queue_ptr 0
		.amdhsa_user_sgpr_kernarg_segment_ptr 1
		.amdhsa_user_sgpr_dispatch_id 0
		.amdhsa_user_sgpr_flat_scratch_init 1
		.amdhsa_user_sgpr_kernarg_preload_length 0
		.amdhsa_user_sgpr_kernarg_preload_offset 0
		.amdhsa_user_sgpr_private_segment_size 0
		.amdhsa_uses_dynamic_stack 0
		.amdhsa_system_sgpr_private_segment_wavefront_offset 1
		.amdhsa_system_sgpr_workgroup_id_x 1
		.amdhsa_system_sgpr_workgroup_id_y 0
		.amdhsa_system_sgpr_workgroup_id_z 0
		.amdhsa_system_sgpr_workgroup_info 0
		.amdhsa_system_vgpr_workitem_id 0
		.amdhsa_next_free_vgpr 41
		.amdhsa_next_free_sgpr 34
		.amdhsa_accum_offset 44
		.amdhsa_reserve_vcc 1
		.amdhsa_reserve_flat_scratch 1
		.amdhsa_float_round_mode_32 0
		.amdhsa_float_round_mode_16_64 0
		.amdhsa_float_denorm_mode_32 3
		.amdhsa_float_denorm_mode_16_64 3
		.amdhsa_dx10_clamp 1
		.amdhsa_ieee_mode 1
		.amdhsa_fp16_overflow 0
		.amdhsa_tg_split 0
		.amdhsa_exception_fp_ieee_invalid_op 0
		.amdhsa_exception_fp_denorm_src 0
		.amdhsa_exception_fp_ieee_div_zero 0
		.amdhsa_exception_fp_ieee_overflow 0
		.amdhsa_exception_fp_ieee_underflow 0
		.amdhsa_exception_fp_ieee_inexact 0
		.amdhsa_exception_int_div_zero 0
	.end_amdhsa_kernel
	.section	.text._ZN4vllm18convert_fp8_kernelI14__hip_bfloat16hLNS_18Fp8KVCacheDataTypeE0EEEvPKT0_PT_fl,"axG",@progbits,_ZN4vllm18convert_fp8_kernelI14__hip_bfloat16hLNS_18Fp8KVCacheDataTypeE0EEEvPKT0_PT_fl,comdat
.Lfunc_end33:
	.size	_ZN4vllm18convert_fp8_kernelI14__hip_bfloat16hLNS_18Fp8KVCacheDataTypeE0EEEvPKT0_PT_fl, .Lfunc_end33-_ZN4vllm18convert_fp8_kernelI14__hip_bfloat16hLNS_18Fp8KVCacheDataTypeE0EEEvPKT0_PT_fl
                                        ; -- End function
	.section	.AMDGPU.csdata,"",@progbits
; Kernel info:
; codeLenInByte = 112
; NumSgprs: 40
; NumVgprs: 41
; NumAgprs: 0
; TotalNumVgprs: 41
; ScratchSize: 64
; MemoryBound: 0
; FloatMode: 240
; IeeeMode: 1
; LDSByteSize: 0 bytes/workgroup (compile time only)
; SGPRBlocks: 4
; VGPRBlocks: 5
; NumSGPRsForWavesPerEU: 40
; NumVGPRsForWavesPerEU: 41
; AccumOffset: 44
; Occupancy: 8
; WaveLimiterHint : 1
; COMPUTE_PGM_RSRC2:SCRATCH_EN: 1
; COMPUTE_PGM_RSRC2:USER_SGPR: 8
; COMPUTE_PGM_RSRC2:TRAP_HANDLER: 0
; COMPUTE_PGM_RSRC2:TGID_X_EN: 1
; COMPUTE_PGM_RSRC2:TGID_Y_EN: 0
; COMPUTE_PGM_RSRC2:TGID_Z_EN: 0
; COMPUTE_PGM_RSRC2:TIDIG_COMP_CNT: 0
; COMPUTE_PGM_RSRC3_GFX90A:ACCUM_OFFSET: 10
; COMPUTE_PGM_RSRC3_GFX90A:TG_SPLIT: 0
	.section	.text._ZN4vllm18convert_fp8_kernelIhfLNS_18Fp8KVCacheDataTypeE1EEEvPKT0_PT_fl,"axG",@progbits,_ZN4vllm18convert_fp8_kernelIhfLNS_18Fp8KVCacheDataTypeE1EEEvPKT0_PT_fl,comdat
	.protected	_ZN4vllm18convert_fp8_kernelIhfLNS_18Fp8KVCacheDataTypeE1EEEvPKT0_PT_fl ; -- Begin function _ZN4vllm18convert_fp8_kernelIhfLNS_18Fp8KVCacheDataTypeE1EEEvPKT0_PT_fl
	.globl	_ZN4vllm18convert_fp8_kernelIhfLNS_18Fp8KVCacheDataTypeE1EEEvPKT0_PT_fl
	.p2align	8
	.type	_ZN4vllm18convert_fp8_kernelIhfLNS_18Fp8KVCacheDataTypeE1EEEvPKT0_PT_fl,@function
_ZN4vllm18convert_fp8_kernelIhfLNS_18Fp8KVCacheDataTypeE1EEEvPKT0_PT_fl: ; @_ZN4vllm18convert_fp8_kernelIhfLNS_18Fp8KVCacheDataTypeE1EEEvPKT0_PT_fl
; %bb.0:
	s_load_dwordx2 s[2:3], s[4:5], 0x18
	v_mov_b32_e32 v1, 0
	s_waitcnt lgkmcnt(0)
	v_cmp_gt_i64_e32 vcc, s[2:3], v[0:1]
	s_and_saveexec_b64 s[0:1], vcc
	s_cbranch_execz .LBB34_19
; %bb.1:
	s_load_dwordx4 s[8:11], s[4:5], 0x0
	s_load_dword s22, s[4:5], 0x10
	s_load_dword s0, s[4:5], 0x2c
	s_mul_i32 s1, s6, s3
	s_mul_hi_u32 s4, s6, s2
	s_add_i32 s1, s4, s1
	s_mul_i32 s23, s6, s2
	s_waitcnt lgkmcnt(0)
	s_and_b32 s24, s0, 0xffff
	v_add_u32_e32 v2, s24, v0
	s_mov_b64 s[4:5], 0
	v_mov_b32_e32 v8, s1
	v_mov_b32_e32 v9, s9
	s_movk_i32 s9, 0x80
	s_mov_b64 s[6:7], 0x7f800000
	s_mov_b64 s[12:13], 0x43e00001
	s_movk_i32 s25, 0x7a
	s_mov_b64 s[14:15], 0xffffff
	s_movk_i32 s26, 0x7f
	v_mov_b32_e32 v10, 0xffffff82
	v_mov_b32_e32 v11, 0x78
	v_pk_mov_b32 v[4:5], v[0:1], v[0:1] op_sel:[0,1]
	s_branch .LBB34_3
.LBB34_2:                               ;   in Loop: Header=BB34_3 Depth=1
	s_or_b64 exec, exec, s[0:1]
	v_mov_b32_e32 v0, s11
	v_add_co_u32_e32 v4, vcc, s10, v4
	v_addc_co_u32_e32 v5, vcc, v0, v5, vcc
	v_ashrrev_i32_e32 v3, 31, v2
	v_cmp_le_i64_e32 vcc, s[2:3], v[2:3]
	global_store_byte v[4:5], v7, off
	v_pk_mov_b32 v[4:5], v[2:3], v[2:3] op_sel:[0,1]
	s_or_b64 s[4:5], vcc, s[4:5]
	v_add_u32_e32 v2, s24, v2
	s_andn2_b64 exec, exec, s[4:5]
	s_cbranch_execz .LBB34_19
.LBB34_3:                               ; =>This Inner Loop Header: Depth=1
	v_add_co_u32_e32 v4, vcc, s23, v4
	v_addc_co_u32_e32 v5, vcc, v5, v8, vcc
	v_lshlrev_b64 v[6:7], 2, v[4:5]
	v_add_co_u32_e32 v6, vcc, s8, v6
	v_addc_co_u32_e32 v7, vcc, v9, v7, vcc
	global_load_dword v0, v[6:7], off
	v_mov_b32_e32 v13, v1
	s_waitcnt vmcnt(0)
	v_div_scale_f32 v3, s[0:1], s22, s22, v0
	v_rcp_f32_e32 v6, v3
	v_div_scale_f32 v7, vcc, v0, s22, v0
	v_fma_f32 v12, -v3, v6, 1.0
	v_fmac_f32_e32 v6, v12, v6
	v_mul_f32_e32 v12, v7, v6
	v_fma_f32 v14, -v3, v12, v7
	v_fmac_f32_e32 v12, v14, v6
	v_fma_f32 v3, -v3, v12, v7
	v_div_fmas_f32 v3, v3, v6, v12
	v_div_fixup_f32 v6, v3, s22, v0
	v_and_b32_sdwa v3, v6, s9 dst_sel:DWORD dst_unused:UNUSED_PAD src0_sel:BYTE_3 src1_sel:DWORD
	v_and_b32_e32 v12, 0x7f800000, v6
	v_and_b32_e32 v0, 0x7fffff, v6
	v_or_b32_e32 v7, 0x7e, v3
	v_cmp_ne_u64_e32 vcc, s[6:7], v[12:13]
	s_and_saveexec_b64 s[0:1], vcc
	s_xor_b64 s[16:17], exec, s[0:1]
	s_cbranch_execz .LBB34_17
; %bb.4:                                ;   in Loop: Header=BB34_3 Depth=1
	v_and_b32_e32 v12, 0x7fffffff, v6
	v_mov_b32_e32 v13, v1
	v_cmp_gt_u64_e32 vcc, s[12:13], v[12:13]
	s_and_saveexec_b64 s[0:1], vcc
	s_xor_b64 s[18:19], exec, s[0:1]
	s_cbranch_execz .LBB34_16
; %bb.5:                                ;   in Loop: Header=BB34_3 Depth=1
	v_cmp_ne_u32_e32 vcc, 0, v6
	v_mov_b32_e32 v7, 0
	s_and_saveexec_b64 s[20:21], vcc
	s_cbranch_execz .LBB34_15
; %bb.6:                                ;   in Loop: Header=BB34_3 Depth=1
	v_bfe_u32 v6, v6, 23, 8
	v_sub_u32_e32 v12, 0x79, v6
	v_cmp_gt_u32_e32 vcc, s25, v6
	v_cndmask_b32_e32 v12, 0, v12, vcc
	v_cmp_eq_u32_e32 vcc, 0, v6
	v_cndmask_b32_e32 v12, v12, v11, vcc
	v_add_u32_e32 v7, 0xffffff81, v6
	v_or_b32_e32 v13, 0x800000, v0
	v_add_u32_e32 v6, 20, v12
	v_cndmask_b32_e32 v18, v7, v10, vcc
	v_cndmask_b32_e32 v0, v13, v0, vcc
	v_lshlrev_b64 v[6:7], v6, -1
	v_not_b32_e32 v6, v6
	v_lshrrev_b64 v[16:17], v12, v[0:1]
	v_not_b32_e32 v7, v7
	v_and_b32_e32 v6, v0, v6
	v_add_u32_e32 v13, 19, v12
	v_lshrrev_b32_e32 v0, 23, v16
	v_and_b32_e32 v7, 0, v7
	v_lshlrev_b64 v[14:15], v13, 1
	v_add3_u32 v13, v12, v18, v0
	v_bfe_u32 v0, v16, 20, 1
	v_add_u32_e32 v0, -1, v0
	v_cmp_eq_u64_e32 vcc, v[6:7], v[14:15]
	v_cndmask_b32_e32 v0, 0, v0, vcc
	v_add_u32_e32 v0, v0, v16
	v_and_b32_e32 v0, 0xfffff, v0
	v_add_co_u32_e32 v6, vcc, v0, v16
	v_add_u32_e32 v12, 6, v13
	v_addc_co_u32_e32 v7, vcc, 0, v17, vcc
	v_cmp_ne_u32_e32 vcc, 0, v12
                                        ; implicit-def: $vgpr0
	s_and_saveexec_b64 s[0:1], vcc
	s_xor_b64 s[0:1], exec, s[0:1]
; %bb.7:                                ;   in Loop: Header=BB34_3 Depth=1
	v_add_u32_e32 v0, 7, v13
	v_cmp_lt_u64_e32 vcc, s[14:15], v[6:7]
	v_cndmask_b32_e32 v0, v12, v0, vcc
	v_cndmask_b32_e64 v12, 0, 1, vcc
	v_lshrrev_b64 v[6:7], v12, v[6:7]
; %bb.8:                                ;   in Loop: Header=BB34_3 Depth=1
	s_andn2_saveexec_b64 s[0:1], s[0:1]
; %bb.9:                                ;   in Loop: Header=BB34_3 Depth=1
	v_bfe_u32 v0, v6, 23, 1
; %bb.10:                               ;   in Loop: Header=BB34_3 Depth=1
	s_or_b64 exec, exec, s[0:1]
	v_lshrrev_b64 v[6:7], 20, v[6:7]
	v_cmp_gt_i32_e32 vcc, 16, v0
	v_cndmask_b32_e32 v7, 0, v7, vcc
	v_cndmask_b32_e32 v6, 7, v6, vcc
	v_cmp_ne_u32_e32 vcc, 0, v0
	v_cmp_ne_u64_e64 s[0:1], 0, v[6:7]
	s_or_b64 s[0:1], vcc, s[0:1]
                                        ; implicit-def: $vgpr7
	s_and_saveexec_b64 s[28:29], s[0:1]
	s_xor_b64 s[0:1], exec, s[28:29]
; %bb.11:                               ;   in Loop: Header=BB34_3 Depth=1
	v_min_i32_e32 v0, 15, v0
	v_lshl_or_b32 v0, v0, 3, v3
	v_and_or_b32 v7, v6, 7, v0
                                        ; implicit-def: $vgpr3
; %bb.12:                               ;   in Loop: Header=BB34_3 Depth=1
	s_andn2_saveexec_b64 s[0:1], s[0:1]
; %bb.13:                               ;   in Loop: Header=BB34_3 Depth=1
	v_mov_b32_e32 v7, v3
; %bb.14:                               ;   in Loop: Header=BB34_3 Depth=1
	s_or_b64 exec, exec, s[0:1]
.LBB34_15:                              ;   in Loop: Header=BB34_3 Depth=1
	s_or_b64 exec, exec, s[20:21]
.LBB34_16:                              ;   in Loop: Header=BB34_3 Depth=1
	s_andn2_saveexec_b64 s[0:1], s[18:19]
	s_or_b64 exec, exec, s[0:1]
                                        ; implicit-def: $vgpr6
.LBB34_17:                              ;   in Loop: Header=BB34_3 Depth=1
	s_andn2_saveexec_b64 s[0:1], s[16:17]
	s_cbranch_execz .LBB34_2
; %bb.18:                               ;   in Loop: Header=BB34_3 Depth=1
	v_or_b32_sdwa v3, v6, s26 dst_sel:DWORD dst_unused:UNUSED_PAD src0_sel:BYTE_3 src1_sel:DWORD
	v_cmp_eq_u64_e32 vcc, 0, v[0:1]
	v_cndmask_b32_e32 v7, v3, v7, vcc
	s_branch .LBB34_2
.LBB34_19:
	s_endpgm
	.section	.rodata,"a",@progbits
	.p2align	6, 0x0
	.amdhsa_kernel _ZN4vllm18convert_fp8_kernelIhfLNS_18Fp8KVCacheDataTypeE1EEEvPKT0_PT_fl
		.amdhsa_group_segment_fixed_size 0
		.amdhsa_private_segment_fixed_size 0
		.amdhsa_kernarg_size 288
		.amdhsa_user_sgpr_count 6
		.amdhsa_user_sgpr_private_segment_buffer 1
		.amdhsa_user_sgpr_dispatch_ptr 0
		.amdhsa_user_sgpr_queue_ptr 0
		.amdhsa_user_sgpr_kernarg_segment_ptr 1
		.amdhsa_user_sgpr_dispatch_id 0
		.amdhsa_user_sgpr_flat_scratch_init 0
		.amdhsa_user_sgpr_kernarg_preload_length 0
		.amdhsa_user_sgpr_kernarg_preload_offset 0
		.amdhsa_user_sgpr_private_segment_size 0
		.amdhsa_uses_dynamic_stack 0
		.amdhsa_system_sgpr_private_segment_wavefront_offset 0
		.amdhsa_system_sgpr_workgroup_id_x 1
		.amdhsa_system_sgpr_workgroup_id_y 0
		.amdhsa_system_sgpr_workgroup_id_z 0
		.amdhsa_system_sgpr_workgroup_info 0
		.amdhsa_system_vgpr_workitem_id 0
		.amdhsa_next_free_vgpr 19
		.amdhsa_next_free_sgpr 30
		.amdhsa_accum_offset 20
		.amdhsa_reserve_vcc 1
		.amdhsa_reserve_flat_scratch 0
		.amdhsa_float_round_mode_32 0
		.amdhsa_float_round_mode_16_64 0
		.amdhsa_float_denorm_mode_32 3
		.amdhsa_float_denorm_mode_16_64 3
		.amdhsa_dx10_clamp 1
		.amdhsa_ieee_mode 1
		.amdhsa_fp16_overflow 0
		.amdhsa_tg_split 0
		.amdhsa_exception_fp_ieee_invalid_op 0
		.amdhsa_exception_fp_denorm_src 0
		.amdhsa_exception_fp_ieee_div_zero 0
		.amdhsa_exception_fp_ieee_overflow 0
		.amdhsa_exception_fp_ieee_underflow 0
		.amdhsa_exception_fp_ieee_inexact 0
		.amdhsa_exception_int_div_zero 0
	.end_amdhsa_kernel
	.section	.text._ZN4vllm18convert_fp8_kernelIhfLNS_18Fp8KVCacheDataTypeE1EEEvPKT0_PT_fl,"axG",@progbits,_ZN4vllm18convert_fp8_kernelIhfLNS_18Fp8KVCacheDataTypeE1EEEvPKT0_PT_fl,comdat
.Lfunc_end34:
	.size	_ZN4vllm18convert_fp8_kernelIhfLNS_18Fp8KVCacheDataTypeE1EEEvPKT0_PT_fl, .Lfunc_end34-_ZN4vllm18convert_fp8_kernelIhfLNS_18Fp8KVCacheDataTypeE1EEEvPKT0_PT_fl
                                        ; -- End function
	.section	.AMDGPU.csdata,"",@progbits
; Kernel info:
; codeLenInByte = 756
; NumSgprs: 34
; NumVgprs: 19
; NumAgprs: 0
; TotalNumVgprs: 19
; ScratchSize: 0
; MemoryBound: 0
; FloatMode: 240
; IeeeMode: 1
; LDSByteSize: 0 bytes/workgroup (compile time only)
; SGPRBlocks: 4
; VGPRBlocks: 2
; NumSGPRsForWavesPerEU: 34
; NumVGPRsForWavesPerEU: 19
; AccumOffset: 20
; Occupancy: 8
; WaveLimiterHint : 0
; COMPUTE_PGM_RSRC2:SCRATCH_EN: 0
; COMPUTE_PGM_RSRC2:USER_SGPR: 6
; COMPUTE_PGM_RSRC2:TRAP_HANDLER: 0
; COMPUTE_PGM_RSRC2:TGID_X_EN: 1
; COMPUTE_PGM_RSRC2:TGID_Y_EN: 0
; COMPUTE_PGM_RSRC2:TGID_Z_EN: 0
; COMPUTE_PGM_RSRC2:TIDIG_COMP_CNT: 0
; COMPUTE_PGM_RSRC3_GFX90A:ACCUM_OFFSET: 4
; COMPUTE_PGM_RSRC3_GFX90A:TG_SPLIT: 0
	.section	.text._ZN4vllm18convert_fp8_kernelIhtLNS_18Fp8KVCacheDataTypeE1EEEvPKT0_PT_fl,"axG",@progbits,_ZN4vllm18convert_fp8_kernelIhtLNS_18Fp8KVCacheDataTypeE1EEEvPKT0_PT_fl,comdat
	.protected	_ZN4vllm18convert_fp8_kernelIhtLNS_18Fp8KVCacheDataTypeE1EEEvPKT0_PT_fl ; -- Begin function _ZN4vllm18convert_fp8_kernelIhtLNS_18Fp8KVCacheDataTypeE1EEEvPKT0_PT_fl
	.globl	_ZN4vllm18convert_fp8_kernelIhtLNS_18Fp8KVCacheDataTypeE1EEEvPKT0_PT_fl
	.p2align	8
	.type	_ZN4vllm18convert_fp8_kernelIhtLNS_18Fp8KVCacheDataTypeE1EEEvPKT0_PT_fl,@function
_ZN4vllm18convert_fp8_kernelIhtLNS_18Fp8KVCacheDataTypeE1EEEvPKT0_PT_fl: ; @_ZN4vllm18convert_fp8_kernelIhtLNS_18Fp8KVCacheDataTypeE1EEEvPKT0_PT_fl
; %bb.0:
	s_load_dwordx2 s[2:3], s[4:5], 0x18
	v_mov_b32_e32 v1, 0
	s_waitcnt lgkmcnt(0)
	v_cmp_gt_i64_e32 vcc, s[2:3], v[0:1]
	s_and_saveexec_b64 s[0:1], vcc
	s_cbranch_execz .LBB35_19
; %bb.1:
	s_load_dwordx4 s[8:11], s[4:5], 0x0
	s_load_dword s22, s[4:5], 0x10
	s_load_dword s0, s[4:5], 0x2c
	s_mul_i32 s1, s6, s3
	s_mul_hi_u32 s4, s6, s2
	s_add_i32 s1, s4, s1
	s_mul_i32 s23, s6, s2
	s_waitcnt lgkmcnt(0)
	s_and_b32 s24, s0, 0xffff
	v_add_u32_e32 v2, s24, v0
	s_mov_b64 s[4:5], 0
	v_mov_b32_e32 v8, s1
	v_mov_b32_e32 v9, s9
	s_movk_i32 s9, 0x80
	s_mov_b64 s[6:7], 0x7f800000
	s_mov_b64 s[12:13], 0x43e00001
	s_movk_i32 s25, 0x7a
	s_mov_b64 s[14:15], 0xffffff
	s_movk_i32 s26, 0x7f
	v_mov_b32_e32 v10, 0xffffff82
	v_mov_b32_e32 v11, 0x78
	v_pk_mov_b32 v[4:5], v[0:1], v[0:1] op_sel:[0,1]
	s_branch .LBB35_3
.LBB35_2:                               ;   in Loop: Header=BB35_3 Depth=1
	s_or_b64 exec, exec, s[0:1]
	v_mov_b32_e32 v0, s11
	v_add_co_u32_e32 v4, vcc, s10, v4
	v_addc_co_u32_e32 v5, vcc, v0, v5, vcc
	v_ashrrev_i32_e32 v3, 31, v2
	v_cmp_le_i64_e32 vcc, s[2:3], v[2:3]
	global_store_byte v[4:5], v7, off
	v_pk_mov_b32 v[4:5], v[2:3], v[2:3] op_sel:[0,1]
	s_or_b64 s[4:5], vcc, s[4:5]
	v_add_u32_e32 v2, s24, v2
	s_andn2_b64 exec, exec, s[4:5]
	s_cbranch_execz .LBB35_19
.LBB35_3:                               ; =>This Inner Loop Header: Depth=1
	v_add_co_u32_e32 v4, vcc, s23, v4
	v_addc_co_u32_e32 v5, vcc, v5, v8, vcc
	v_lshlrev_b64 v[6:7], 1, v[4:5]
	v_add_co_u32_e32 v6, vcc, s8, v6
	v_addc_co_u32_e32 v7, vcc, v9, v7, vcc
	global_load_ushort v0, v[6:7], off
	s_waitcnt vmcnt(0)
	v_cvt_f32_f16_e32 v0, v0
	v_div_scale_f32 v3, s[0:1], s22, s22, v0
	v_rcp_f32_e32 v6, v3
	v_div_scale_f32 v7, vcc, v0, s22, v0
	v_fma_f32 v12, -v3, v6, 1.0
	v_fmac_f32_e32 v6, v12, v6
	v_mul_f32_e32 v12, v7, v6
	v_fma_f32 v13, -v3, v12, v7
	v_fmac_f32_e32 v12, v13, v6
	v_fma_f32 v3, -v3, v12, v7
	v_div_fmas_f32 v3, v3, v6, v12
	v_div_fixup_f32 v0, v3, s22, v0
	v_cvt_f16_f32_e32 v0, v0
	v_mov_b32_e32 v13, v1
	v_cvt_f32_f16_e32 v6, v0
	v_and_b32_sdwa v3, v6, s9 dst_sel:DWORD dst_unused:UNUSED_PAD src0_sel:BYTE_3 src1_sel:DWORD
	v_and_b32_e32 v12, 0x7f800000, v6
	v_and_b32_e32 v0, 0x7fffff, v6
	v_or_b32_e32 v7, 0x7e, v3
	v_cmp_ne_u64_e32 vcc, s[6:7], v[12:13]
	s_and_saveexec_b64 s[0:1], vcc
	s_xor_b64 s[16:17], exec, s[0:1]
	s_cbranch_execz .LBB35_17
; %bb.4:                                ;   in Loop: Header=BB35_3 Depth=1
	v_and_b32_e32 v12, 0x7fffffff, v6
	v_mov_b32_e32 v13, v1
	v_cmp_gt_u64_e32 vcc, s[12:13], v[12:13]
	s_and_saveexec_b64 s[0:1], vcc
	s_xor_b64 s[18:19], exec, s[0:1]
	s_cbranch_execz .LBB35_16
; %bb.5:                                ;   in Loop: Header=BB35_3 Depth=1
	v_cmp_ne_u32_e32 vcc, 0, v6
	v_mov_b32_e32 v7, 0
	s_and_saveexec_b64 s[20:21], vcc
	s_cbranch_execz .LBB35_15
; %bb.6:                                ;   in Loop: Header=BB35_3 Depth=1
	v_bfe_u32 v6, v6, 23, 8
	v_sub_u32_e32 v12, 0x79, v6
	v_cmp_gt_u32_e32 vcc, s25, v6
	v_cndmask_b32_e32 v12, 0, v12, vcc
	v_cmp_eq_u32_e32 vcc, 0, v6
	v_cndmask_b32_e32 v12, v12, v11, vcc
	v_add_u32_e32 v7, 0xffffff81, v6
	v_or_b32_e32 v13, 0x800000, v0
	v_add_u32_e32 v6, 20, v12
	v_cndmask_b32_e32 v18, v7, v10, vcc
	v_cndmask_b32_e32 v0, v13, v0, vcc
	v_lshlrev_b64 v[6:7], v6, -1
	v_not_b32_e32 v6, v6
	v_lshrrev_b64 v[16:17], v12, v[0:1]
	v_not_b32_e32 v7, v7
	v_and_b32_e32 v6, v0, v6
	v_add_u32_e32 v13, 19, v12
	v_lshrrev_b32_e32 v0, 23, v16
	v_and_b32_e32 v7, 0, v7
	v_lshlrev_b64 v[14:15], v13, 1
	v_add3_u32 v13, v12, v18, v0
	v_bfe_u32 v0, v16, 20, 1
	v_add_u32_e32 v0, -1, v0
	v_cmp_eq_u64_e32 vcc, v[6:7], v[14:15]
	v_cndmask_b32_e32 v0, 0, v0, vcc
	v_add_u32_e32 v0, v0, v16
	v_and_b32_e32 v0, 0xfffff, v0
	v_add_co_u32_e32 v6, vcc, v0, v16
	v_add_u32_e32 v12, 6, v13
	v_addc_co_u32_e32 v7, vcc, 0, v17, vcc
	v_cmp_ne_u32_e32 vcc, 0, v12
                                        ; implicit-def: $vgpr0
	s_and_saveexec_b64 s[0:1], vcc
	s_xor_b64 s[0:1], exec, s[0:1]
; %bb.7:                                ;   in Loop: Header=BB35_3 Depth=1
	v_add_u32_e32 v0, 7, v13
	v_cmp_lt_u64_e32 vcc, s[14:15], v[6:7]
	v_cndmask_b32_e32 v0, v12, v0, vcc
	v_cndmask_b32_e64 v12, 0, 1, vcc
	v_lshrrev_b64 v[6:7], v12, v[6:7]
; %bb.8:                                ;   in Loop: Header=BB35_3 Depth=1
	s_andn2_saveexec_b64 s[0:1], s[0:1]
; %bb.9:                                ;   in Loop: Header=BB35_3 Depth=1
	v_bfe_u32 v0, v6, 23, 1
; %bb.10:                               ;   in Loop: Header=BB35_3 Depth=1
	s_or_b64 exec, exec, s[0:1]
	v_lshrrev_b64 v[6:7], 20, v[6:7]
	v_cmp_gt_i32_e32 vcc, 16, v0
	v_cndmask_b32_e32 v7, 0, v7, vcc
	v_cndmask_b32_e32 v6, 7, v6, vcc
	v_cmp_ne_u32_e32 vcc, 0, v0
	v_cmp_ne_u64_e64 s[0:1], 0, v[6:7]
	s_or_b64 s[0:1], vcc, s[0:1]
                                        ; implicit-def: $vgpr7
	s_and_saveexec_b64 s[28:29], s[0:1]
	s_xor_b64 s[0:1], exec, s[28:29]
; %bb.11:                               ;   in Loop: Header=BB35_3 Depth=1
	v_min_i32_e32 v0, 15, v0
	v_lshl_or_b32 v0, v0, 3, v3
	v_and_or_b32 v7, v6, 7, v0
                                        ; implicit-def: $vgpr3
; %bb.12:                               ;   in Loop: Header=BB35_3 Depth=1
	s_andn2_saveexec_b64 s[0:1], s[0:1]
; %bb.13:                               ;   in Loop: Header=BB35_3 Depth=1
	v_mov_b32_e32 v7, v3
; %bb.14:                               ;   in Loop: Header=BB35_3 Depth=1
	s_or_b64 exec, exec, s[0:1]
.LBB35_15:                              ;   in Loop: Header=BB35_3 Depth=1
	s_or_b64 exec, exec, s[20:21]
.LBB35_16:                              ;   in Loop: Header=BB35_3 Depth=1
	s_andn2_saveexec_b64 s[0:1], s[18:19]
	s_or_b64 exec, exec, s[0:1]
                                        ; implicit-def: $vgpr6
.LBB35_17:                              ;   in Loop: Header=BB35_3 Depth=1
	s_andn2_saveexec_b64 s[0:1], s[16:17]
	s_cbranch_execz .LBB35_2
; %bb.18:                               ;   in Loop: Header=BB35_3 Depth=1
	v_or_b32_sdwa v3, v6, s26 dst_sel:DWORD dst_unused:UNUSED_PAD src0_sel:BYTE_3 src1_sel:DWORD
	v_cmp_eq_u64_e32 vcc, 0, v[0:1]
	v_cndmask_b32_e32 v7, v3, v7, vcc
	s_branch .LBB35_2
.LBB35_19:
	s_endpgm
	.section	.rodata,"a",@progbits
	.p2align	6, 0x0
	.amdhsa_kernel _ZN4vllm18convert_fp8_kernelIhtLNS_18Fp8KVCacheDataTypeE1EEEvPKT0_PT_fl
		.amdhsa_group_segment_fixed_size 0
		.amdhsa_private_segment_fixed_size 0
		.amdhsa_kernarg_size 288
		.amdhsa_user_sgpr_count 6
		.amdhsa_user_sgpr_private_segment_buffer 1
		.amdhsa_user_sgpr_dispatch_ptr 0
		.amdhsa_user_sgpr_queue_ptr 0
		.amdhsa_user_sgpr_kernarg_segment_ptr 1
		.amdhsa_user_sgpr_dispatch_id 0
		.amdhsa_user_sgpr_flat_scratch_init 0
		.amdhsa_user_sgpr_kernarg_preload_length 0
		.amdhsa_user_sgpr_kernarg_preload_offset 0
		.amdhsa_user_sgpr_private_segment_size 0
		.amdhsa_uses_dynamic_stack 0
		.amdhsa_system_sgpr_private_segment_wavefront_offset 0
		.amdhsa_system_sgpr_workgroup_id_x 1
		.amdhsa_system_sgpr_workgroup_id_y 0
		.amdhsa_system_sgpr_workgroup_id_z 0
		.amdhsa_system_sgpr_workgroup_info 0
		.amdhsa_system_vgpr_workitem_id 0
		.amdhsa_next_free_vgpr 19
		.amdhsa_next_free_sgpr 30
		.amdhsa_accum_offset 20
		.amdhsa_reserve_vcc 1
		.amdhsa_reserve_flat_scratch 0
		.amdhsa_float_round_mode_32 0
		.amdhsa_float_round_mode_16_64 0
		.amdhsa_float_denorm_mode_32 3
		.amdhsa_float_denorm_mode_16_64 3
		.amdhsa_dx10_clamp 1
		.amdhsa_ieee_mode 1
		.amdhsa_fp16_overflow 0
		.amdhsa_tg_split 0
		.amdhsa_exception_fp_ieee_invalid_op 0
		.amdhsa_exception_fp_denorm_src 0
		.amdhsa_exception_fp_ieee_div_zero 0
		.amdhsa_exception_fp_ieee_overflow 0
		.amdhsa_exception_fp_ieee_underflow 0
		.amdhsa_exception_fp_ieee_inexact 0
		.amdhsa_exception_int_div_zero 0
	.end_amdhsa_kernel
	.section	.text._ZN4vllm18convert_fp8_kernelIhtLNS_18Fp8KVCacheDataTypeE1EEEvPKT0_PT_fl,"axG",@progbits,_ZN4vllm18convert_fp8_kernelIhtLNS_18Fp8KVCacheDataTypeE1EEEvPKT0_PT_fl,comdat
.Lfunc_end35:
	.size	_ZN4vllm18convert_fp8_kernelIhtLNS_18Fp8KVCacheDataTypeE1EEEvPKT0_PT_fl, .Lfunc_end35-_ZN4vllm18convert_fp8_kernelIhtLNS_18Fp8KVCacheDataTypeE1EEEvPKT0_PT_fl
                                        ; -- End function
	.section	.AMDGPU.csdata,"",@progbits
; Kernel info:
; codeLenInByte = 768
; NumSgprs: 34
; NumVgprs: 19
; NumAgprs: 0
; TotalNumVgprs: 19
; ScratchSize: 0
; MemoryBound: 0
; FloatMode: 240
; IeeeMode: 1
; LDSByteSize: 0 bytes/workgroup (compile time only)
; SGPRBlocks: 4
; VGPRBlocks: 2
; NumSGPRsForWavesPerEU: 34
; NumVGPRsForWavesPerEU: 19
; AccumOffset: 20
; Occupancy: 8
; WaveLimiterHint : 0
; COMPUTE_PGM_RSRC2:SCRATCH_EN: 0
; COMPUTE_PGM_RSRC2:USER_SGPR: 6
; COMPUTE_PGM_RSRC2:TRAP_HANDLER: 0
; COMPUTE_PGM_RSRC2:TGID_X_EN: 1
; COMPUTE_PGM_RSRC2:TGID_Y_EN: 0
; COMPUTE_PGM_RSRC2:TGID_Z_EN: 0
; COMPUTE_PGM_RSRC2:TIDIG_COMP_CNT: 0
; COMPUTE_PGM_RSRC3_GFX90A:ACCUM_OFFSET: 4
; COMPUTE_PGM_RSRC3_GFX90A:TG_SPLIT: 0
	.section	.text._ZN4vllm18convert_fp8_kernelIh14__hip_bfloat16LNS_18Fp8KVCacheDataTypeE1EEEvPKT0_PT_fl,"axG",@progbits,_ZN4vllm18convert_fp8_kernelIh14__hip_bfloat16LNS_18Fp8KVCacheDataTypeE1EEEvPKT0_PT_fl,comdat
	.protected	_ZN4vllm18convert_fp8_kernelIh14__hip_bfloat16LNS_18Fp8KVCacheDataTypeE1EEEvPKT0_PT_fl ; -- Begin function _ZN4vllm18convert_fp8_kernelIh14__hip_bfloat16LNS_18Fp8KVCacheDataTypeE1EEEvPKT0_PT_fl
	.globl	_ZN4vllm18convert_fp8_kernelIh14__hip_bfloat16LNS_18Fp8KVCacheDataTypeE1EEEvPKT0_PT_fl
	.p2align	8
	.type	_ZN4vllm18convert_fp8_kernelIh14__hip_bfloat16LNS_18Fp8KVCacheDataTypeE1EEEvPKT0_PT_fl,@function
_ZN4vllm18convert_fp8_kernelIh14__hip_bfloat16LNS_18Fp8KVCacheDataTypeE1EEEvPKT0_PT_fl: ; @_ZN4vllm18convert_fp8_kernelIh14__hip_bfloat16LNS_18Fp8KVCacheDataTypeE1EEEvPKT0_PT_fl
; %bb.0:
	s_load_dwordx2 s[2:3], s[4:5], 0x18
	v_mov_b32_e32 v1, 0
	s_waitcnt lgkmcnt(0)
	v_cmp_gt_i64_e32 vcc, s[2:3], v[0:1]
	s_and_saveexec_b64 s[0:1], vcc
	s_cbranch_execz .LBB36_19
; %bb.1:
	s_load_dwordx4 s[8:11], s[4:5], 0x0
	s_load_dword s22, s[4:5], 0x10
	s_load_dword s0, s[4:5], 0x2c
	s_mul_i32 s1, s6, s3
	s_mul_hi_u32 s4, s6, s2
	s_add_i32 s1, s4, s1
	s_mul_i32 s23, s6, s2
	s_waitcnt lgkmcnt(0)
	s_and_b32 s24, s0, 0xffff
	v_add_u32_e32 v2, s24, v0
	s_mov_b64 s[4:5], 0
	v_mov_b32_e32 v8, s1
	v_mov_b32_e32 v9, s9
	s_movk_i32 s9, 0x80
	s_mov_b64 s[6:7], 0x7f800000
	s_mov_b64 s[12:13], 0x43e00001
	s_movk_i32 s25, 0x7a
	s_mov_b64 s[14:15], 0xffffff
	s_movk_i32 s26, 0x7f
	v_mov_b32_e32 v10, 0xffffff82
	v_mov_b32_e32 v11, 0x78
	v_pk_mov_b32 v[4:5], v[0:1], v[0:1] op_sel:[0,1]
	s_branch .LBB36_3
.LBB36_2:                               ;   in Loop: Header=BB36_3 Depth=1
	s_or_b64 exec, exec, s[0:1]
	v_mov_b32_e32 v0, s11
	v_add_co_u32_e32 v4, vcc, s10, v4
	v_addc_co_u32_e32 v5, vcc, v0, v5, vcc
	v_ashrrev_i32_e32 v3, 31, v2
	v_cmp_le_i64_e32 vcc, s[2:3], v[2:3]
	global_store_byte v[4:5], v7, off
	v_pk_mov_b32 v[4:5], v[2:3], v[2:3] op_sel:[0,1]
	s_or_b64 s[4:5], vcc, s[4:5]
	v_add_u32_e32 v2, s24, v2
	s_andn2_b64 exec, exec, s[4:5]
	s_cbranch_execz .LBB36_19
.LBB36_3:                               ; =>This Inner Loop Header: Depth=1
	v_add_co_u32_e32 v4, vcc, s23, v4
	v_addc_co_u32_e32 v5, vcc, v5, v8, vcc
	v_lshlrev_b64 v[6:7], 1, v[4:5]
	v_add_co_u32_e32 v6, vcc, s8, v6
	v_addc_co_u32_e32 v7, vcc, v9, v7, vcc
	global_load_ushort v0, v[6:7], off
	v_mov_b32_e32 v13, v1
	s_waitcnt vmcnt(0)
	v_lshlrev_b32_e32 v0, 16, v0
	v_div_scale_f32 v3, s[0:1], s22, s22, v0
	v_rcp_f32_e32 v6, v3
	v_div_scale_f32 v7, vcc, v0, s22, v0
	v_fma_f32 v12, -v3, v6, 1.0
	v_fmac_f32_e32 v6, v12, v6
	v_mul_f32_e32 v12, v7, v6
	v_fma_f32 v14, -v3, v12, v7
	v_fmac_f32_e32 v12, v14, v6
	v_fma_f32 v3, -v3, v12, v7
	v_div_fmas_f32 v3, v3, v6, v12
	v_div_fixup_f32 v6, v3, s22, v0
	v_and_b32_sdwa v3, v6, s9 dst_sel:DWORD dst_unused:UNUSED_PAD src0_sel:BYTE_3 src1_sel:DWORD
	v_and_b32_e32 v12, 0x7f800000, v6
	v_and_b32_e32 v0, 0x7fffff, v6
	v_or_b32_e32 v7, 0x7e, v3
	v_cmp_ne_u64_e32 vcc, s[6:7], v[12:13]
	s_and_saveexec_b64 s[0:1], vcc
	s_xor_b64 s[16:17], exec, s[0:1]
	s_cbranch_execz .LBB36_17
; %bb.4:                                ;   in Loop: Header=BB36_3 Depth=1
	v_and_b32_e32 v12, 0x7fffffff, v6
	v_mov_b32_e32 v13, v1
	v_cmp_gt_u64_e32 vcc, s[12:13], v[12:13]
	s_and_saveexec_b64 s[0:1], vcc
	s_xor_b64 s[18:19], exec, s[0:1]
	s_cbranch_execz .LBB36_16
; %bb.5:                                ;   in Loop: Header=BB36_3 Depth=1
	v_cmp_ne_u32_e32 vcc, 0, v6
	v_mov_b32_e32 v7, 0
	s_and_saveexec_b64 s[20:21], vcc
	s_cbranch_execz .LBB36_15
; %bb.6:                                ;   in Loop: Header=BB36_3 Depth=1
	v_bfe_u32 v6, v6, 23, 8
	v_sub_u32_e32 v12, 0x79, v6
	v_cmp_gt_u32_e32 vcc, s25, v6
	v_cndmask_b32_e32 v12, 0, v12, vcc
	v_cmp_eq_u32_e32 vcc, 0, v6
	v_cndmask_b32_e32 v12, v12, v11, vcc
	v_add_u32_e32 v7, 0xffffff81, v6
	v_or_b32_e32 v13, 0x800000, v0
	v_add_u32_e32 v6, 20, v12
	v_cndmask_b32_e32 v18, v7, v10, vcc
	v_cndmask_b32_e32 v0, v13, v0, vcc
	v_lshlrev_b64 v[6:7], v6, -1
	v_not_b32_e32 v6, v6
	v_lshrrev_b64 v[16:17], v12, v[0:1]
	v_not_b32_e32 v7, v7
	v_and_b32_e32 v6, v0, v6
	v_add_u32_e32 v13, 19, v12
	v_lshrrev_b32_e32 v0, 23, v16
	v_and_b32_e32 v7, 0, v7
	v_lshlrev_b64 v[14:15], v13, 1
	v_add3_u32 v13, v12, v18, v0
	v_bfe_u32 v0, v16, 20, 1
	v_add_u32_e32 v0, -1, v0
	v_cmp_eq_u64_e32 vcc, v[6:7], v[14:15]
	v_cndmask_b32_e32 v0, 0, v0, vcc
	v_add_u32_e32 v0, v0, v16
	v_and_b32_e32 v0, 0xfffff, v0
	v_add_co_u32_e32 v6, vcc, v0, v16
	v_add_u32_e32 v12, 6, v13
	v_addc_co_u32_e32 v7, vcc, 0, v17, vcc
	v_cmp_ne_u32_e32 vcc, 0, v12
                                        ; implicit-def: $vgpr0
	s_and_saveexec_b64 s[0:1], vcc
	s_xor_b64 s[0:1], exec, s[0:1]
; %bb.7:                                ;   in Loop: Header=BB36_3 Depth=1
	v_add_u32_e32 v0, 7, v13
	v_cmp_lt_u64_e32 vcc, s[14:15], v[6:7]
	v_cndmask_b32_e32 v0, v12, v0, vcc
	v_cndmask_b32_e64 v12, 0, 1, vcc
	v_lshrrev_b64 v[6:7], v12, v[6:7]
; %bb.8:                                ;   in Loop: Header=BB36_3 Depth=1
	s_andn2_saveexec_b64 s[0:1], s[0:1]
; %bb.9:                                ;   in Loop: Header=BB36_3 Depth=1
	v_bfe_u32 v0, v6, 23, 1
; %bb.10:                               ;   in Loop: Header=BB36_3 Depth=1
	s_or_b64 exec, exec, s[0:1]
	v_lshrrev_b64 v[6:7], 20, v[6:7]
	v_cmp_gt_i32_e32 vcc, 16, v0
	v_cndmask_b32_e32 v7, 0, v7, vcc
	v_cndmask_b32_e32 v6, 7, v6, vcc
	v_cmp_ne_u32_e32 vcc, 0, v0
	v_cmp_ne_u64_e64 s[0:1], 0, v[6:7]
	s_or_b64 s[0:1], vcc, s[0:1]
                                        ; implicit-def: $vgpr7
	s_and_saveexec_b64 s[28:29], s[0:1]
	s_xor_b64 s[0:1], exec, s[28:29]
; %bb.11:                               ;   in Loop: Header=BB36_3 Depth=1
	v_min_i32_e32 v0, 15, v0
	v_lshl_or_b32 v0, v0, 3, v3
	v_and_or_b32 v7, v6, 7, v0
                                        ; implicit-def: $vgpr3
; %bb.12:                               ;   in Loop: Header=BB36_3 Depth=1
	s_andn2_saveexec_b64 s[0:1], s[0:1]
; %bb.13:                               ;   in Loop: Header=BB36_3 Depth=1
	v_mov_b32_e32 v7, v3
; %bb.14:                               ;   in Loop: Header=BB36_3 Depth=1
	s_or_b64 exec, exec, s[0:1]
.LBB36_15:                              ;   in Loop: Header=BB36_3 Depth=1
	s_or_b64 exec, exec, s[20:21]
.LBB36_16:                              ;   in Loop: Header=BB36_3 Depth=1
	s_andn2_saveexec_b64 s[0:1], s[18:19]
	s_or_b64 exec, exec, s[0:1]
                                        ; implicit-def: $vgpr6
.LBB36_17:                              ;   in Loop: Header=BB36_3 Depth=1
	s_andn2_saveexec_b64 s[0:1], s[16:17]
	s_cbranch_execz .LBB36_2
; %bb.18:                               ;   in Loop: Header=BB36_3 Depth=1
	v_or_b32_sdwa v3, v6, s26 dst_sel:DWORD dst_unused:UNUSED_PAD src0_sel:BYTE_3 src1_sel:DWORD
	v_cmp_eq_u64_e32 vcc, 0, v[0:1]
	v_cndmask_b32_e32 v7, v3, v7, vcc
	s_branch .LBB36_2
.LBB36_19:
	s_endpgm
	.section	.rodata,"a",@progbits
	.p2align	6, 0x0
	.amdhsa_kernel _ZN4vllm18convert_fp8_kernelIh14__hip_bfloat16LNS_18Fp8KVCacheDataTypeE1EEEvPKT0_PT_fl
		.amdhsa_group_segment_fixed_size 0
		.amdhsa_private_segment_fixed_size 0
		.amdhsa_kernarg_size 288
		.amdhsa_user_sgpr_count 6
		.amdhsa_user_sgpr_private_segment_buffer 1
		.amdhsa_user_sgpr_dispatch_ptr 0
		.amdhsa_user_sgpr_queue_ptr 0
		.amdhsa_user_sgpr_kernarg_segment_ptr 1
		.amdhsa_user_sgpr_dispatch_id 0
		.amdhsa_user_sgpr_flat_scratch_init 0
		.amdhsa_user_sgpr_kernarg_preload_length 0
		.amdhsa_user_sgpr_kernarg_preload_offset 0
		.amdhsa_user_sgpr_private_segment_size 0
		.amdhsa_uses_dynamic_stack 0
		.amdhsa_system_sgpr_private_segment_wavefront_offset 0
		.amdhsa_system_sgpr_workgroup_id_x 1
		.amdhsa_system_sgpr_workgroup_id_y 0
		.amdhsa_system_sgpr_workgroup_id_z 0
		.amdhsa_system_sgpr_workgroup_info 0
		.amdhsa_system_vgpr_workitem_id 0
		.amdhsa_next_free_vgpr 19
		.amdhsa_next_free_sgpr 30
		.amdhsa_accum_offset 20
		.amdhsa_reserve_vcc 1
		.amdhsa_reserve_flat_scratch 0
		.amdhsa_float_round_mode_32 0
		.amdhsa_float_round_mode_16_64 0
		.amdhsa_float_denorm_mode_32 3
		.amdhsa_float_denorm_mode_16_64 3
		.amdhsa_dx10_clamp 1
		.amdhsa_ieee_mode 1
		.amdhsa_fp16_overflow 0
		.amdhsa_tg_split 0
		.amdhsa_exception_fp_ieee_invalid_op 0
		.amdhsa_exception_fp_denorm_src 0
		.amdhsa_exception_fp_ieee_div_zero 0
		.amdhsa_exception_fp_ieee_overflow 0
		.amdhsa_exception_fp_ieee_underflow 0
		.amdhsa_exception_fp_ieee_inexact 0
		.amdhsa_exception_int_div_zero 0
	.end_amdhsa_kernel
	.section	.text._ZN4vllm18convert_fp8_kernelIh14__hip_bfloat16LNS_18Fp8KVCacheDataTypeE1EEEvPKT0_PT_fl,"axG",@progbits,_ZN4vllm18convert_fp8_kernelIh14__hip_bfloat16LNS_18Fp8KVCacheDataTypeE1EEEvPKT0_PT_fl,comdat
.Lfunc_end36:
	.size	_ZN4vllm18convert_fp8_kernelIh14__hip_bfloat16LNS_18Fp8KVCacheDataTypeE1EEEvPKT0_PT_fl, .Lfunc_end36-_ZN4vllm18convert_fp8_kernelIh14__hip_bfloat16LNS_18Fp8KVCacheDataTypeE1EEEvPKT0_PT_fl
                                        ; -- End function
	.section	.AMDGPU.csdata,"",@progbits
; Kernel info:
; codeLenInByte = 760
; NumSgprs: 34
; NumVgprs: 19
; NumAgprs: 0
; TotalNumVgprs: 19
; ScratchSize: 0
; MemoryBound: 0
; FloatMode: 240
; IeeeMode: 1
; LDSByteSize: 0 bytes/workgroup (compile time only)
; SGPRBlocks: 4
; VGPRBlocks: 2
; NumSGPRsForWavesPerEU: 34
; NumVGPRsForWavesPerEU: 19
; AccumOffset: 20
; Occupancy: 8
; WaveLimiterHint : 0
; COMPUTE_PGM_RSRC2:SCRATCH_EN: 0
; COMPUTE_PGM_RSRC2:USER_SGPR: 6
; COMPUTE_PGM_RSRC2:TRAP_HANDLER: 0
; COMPUTE_PGM_RSRC2:TGID_X_EN: 1
; COMPUTE_PGM_RSRC2:TGID_Y_EN: 0
; COMPUTE_PGM_RSRC2:TGID_Z_EN: 0
; COMPUTE_PGM_RSRC2:TIDIG_COMP_CNT: 0
; COMPUTE_PGM_RSRC3_GFX90A:ACCUM_OFFSET: 4
; COMPUTE_PGM_RSRC3_GFX90A:TG_SPLIT: 0
	.section	.text._ZN4vllm18convert_fp8_kernelIfhLNS_18Fp8KVCacheDataTypeE1EEEvPKT0_PT_fl,"axG",@progbits,_ZN4vllm18convert_fp8_kernelIfhLNS_18Fp8KVCacheDataTypeE1EEEvPKT0_PT_fl,comdat
	.protected	_ZN4vllm18convert_fp8_kernelIfhLNS_18Fp8KVCacheDataTypeE1EEEvPKT0_PT_fl ; -- Begin function _ZN4vllm18convert_fp8_kernelIfhLNS_18Fp8KVCacheDataTypeE1EEEvPKT0_PT_fl
	.globl	_ZN4vllm18convert_fp8_kernelIfhLNS_18Fp8KVCacheDataTypeE1EEEvPKT0_PT_fl
	.p2align	8
	.type	_ZN4vllm18convert_fp8_kernelIfhLNS_18Fp8KVCacheDataTypeE1EEEvPKT0_PT_fl,@function
_ZN4vllm18convert_fp8_kernelIfhLNS_18Fp8KVCacheDataTypeE1EEEvPKT0_PT_fl: ; @_ZN4vllm18convert_fp8_kernelIfhLNS_18Fp8KVCacheDataTypeE1EEEvPKT0_PT_fl
; %bb.0:
	s_load_dwordx2 s[8:9], s[4:5], 0x18
	v_mov_b32_e32 v1, 0
	s_waitcnt lgkmcnt(0)
	v_cmp_gt_i64_e32 vcc, s[8:9], v[0:1]
	s_and_saveexec_b64 s[0:1], vcc
	s_cbranch_execz .LBB37_9
; %bb.1:
	s_load_dwordx4 s[0:3], s[4:5], 0x0
	s_load_dword s14, s[4:5], 0x10
	s_load_dword s7, s[4:5], 0x2c
	s_mul_i32 s4, s6, s9
	s_mul_hi_u32 s5, s6, s8
	s_add_i32 s10, s5, s4
	s_mul_i32 s15, s6, s8
	s_waitcnt lgkmcnt(0)
	s_and_b32 s16, s7, 0xffff
	v_add_u32_e32 v2, s16, v0
	s_mov_b64 s[4:5], 0
	v_mov_b32_e32 v5, s10
	v_mov_b32_e32 v6, s1
	s_movk_i32 s1, 0x80
	s_movk_i32 s17, 0x7f
	v_mov_b32_e32 v7, s3
	v_bfrev_b32_e32 v8, 60
	s_branch .LBB37_5
.LBB37_2:                               ;   in Loop: Header=BB37_5 Depth=1
	s_or_b64 exec, exec, s[12:13]
.LBB37_3:                               ;   in Loop: Header=BB37_5 Depth=1
	s_or_b64 exec, exec, s[10:11]
.LBB37_4:                               ;   in Loop: Header=BB37_5 Depth=1
	s_or_b64 exec, exec, s[6:7]
	v_lshlrev_b64 v[0:1], 2, v[0:1]
	v_add_co_u32_e32 v0, vcc, s2, v0
	v_mul_f32_e32 v3, s14, v9
	v_addc_co_u32_e32 v1, vcc, v7, v1, vcc
	global_store_dword v[0:1], v3, off
	v_ashrrev_i32_e32 v3, 31, v2
	v_cmp_le_i64_e32 vcc, s[8:9], v[2:3]
	v_pk_mov_b32 v[0:1], v[2:3], v[2:3] op_sel:[0,1]
	s_or_b64 s[4:5], vcc, s[4:5]
	v_add_u32_e32 v2, s16, v2
	s_andn2_b64 exec, exec, s[4:5]
	s_cbranch_execz .LBB37_9
.LBB37_5:                               ; =>This Inner Loop Header: Depth=1
	v_add_co_u32_e32 v0, vcc, s15, v0
	v_addc_co_u32_e32 v1, vcc, v1, v5, vcc
	v_add_co_u32_e32 v10, vcc, s0, v0
	v_addc_co_u32_e32 v11, vcc, v6, v1, vcc
	global_load_ubyte v3, v[10:11], off
	v_mov_b32_e32 v9, 0
	s_waitcnt vmcnt(0)
	v_cmp_ne_u16_e32 vcc, 0, v3
	s_and_saveexec_b64 s[6:7], vcc
	s_cbranch_execz .LBB37_4
; %bb.6:                                ;   in Loop: Header=BB37_5 Depth=1
	v_cmp_ne_u16_e32 vcc, s1, v3
	v_bfrev_b32_e32 v9, 1
	s_and_saveexec_b64 s[10:11], vcc
	s_cbranch_execz .LBB37_3
; %bb.7:                                ;   in Loop: Header=BB37_5 Depth=1
	v_and_b32_e32 v4, 0xffff, v3
	v_and_b32_e32 v10, 0x7f, v4
	v_cmp_ne_u32_e32 vcc, s17, v10
	v_mov_b32_e32 v9, 0x7f800001
	s_and_saveexec_b64 s[12:13], vcc
	s_cbranch_execz .LBB37_2
; %bb.8:                                ;   in Loop: Header=BB37_5 Depth=1
	v_and_b32_e32 v9, 7, v4
	v_ffbh_u32_e32 v12, v9
	v_min_u32_e32 v14, 32, v12
	v_subrev_u32_e32 v12, 28, v14
	v_lshlrev_b64 v[12:13], v12, v[4:5]
	v_lshrrev_b32_e32 v11, 3, v10
	v_sub_u32_e32 v4, 29, v14
	v_and_b32_e32 v12, 7, v12
	v_cmp_gt_u32_e32 vcc, 8, v10
	v_cndmask_b32_e32 v4, v11, v4, vcc
	v_cndmask_b32_e32 v9, v9, v12, vcc
	v_lshlrev_b32_e32 v3, 24, v3
	v_lshlrev_b32_e32 v9, 20, v9
	v_and_b32_e32 v3, 0x80000000, v3
	v_lshl_add_u32 v4, v4, 23, v8
	v_or3_b32 v9, v3, v4, v9
	s_branch .LBB37_2
.LBB37_9:
	s_endpgm
	.section	.rodata,"a",@progbits
	.p2align	6, 0x0
	.amdhsa_kernel _ZN4vllm18convert_fp8_kernelIfhLNS_18Fp8KVCacheDataTypeE1EEEvPKT0_PT_fl
		.amdhsa_group_segment_fixed_size 0
		.amdhsa_private_segment_fixed_size 0
		.amdhsa_kernarg_size 288
		.amdhsa_user_sgpr_count 6
		.amdhsa_user_sgpr_private_segment_buffer 1
		.amdhsa_user_sgpr_dispatch_ptr 0
		.amdhsa_user_sgpr_queue_ptr 0
		.amdhsa_user_sgpr_kernarg_segment_ptr 1
		.amdhsa_user_sgpr_dispatch_id 0
		.amdhsa_user_sgpr_flat_scratch_init 0
		.amdhsa_user_sgpr_kernarg_preload_length 0
		.amdhsa_user_sgpr_kernarg_preload_offset 0
		.amdhsa_user_sgpr_private_segment_size 0
		.amdhsa_uses_dynamic_stack 0
		.amdhsa_system_sgpr_private_segment_wavefront_offset 0
		.amdhsa_system_sgpr_workgroup_id_x 1
		.amdhsa_system_sgpr_workgroup_id_y 0
		.amdhsa_system_sgpr_workgroup_id_z 0
		.amdhsa_system_sgpr_workgroup_info 0
		.amdhsa_system_vgpr_workitem_id 0
		.amdhsa_next_free_vgpr 15
		.amdhsa_next_free_sgpr 18
		.amdhsa_accum_offset 16
		.amdhsa_reserve_vcc 1
		.amdhsa_reserve_flat_scratch 0
		.amdhsa_float_round_mode_32 0
		.amdhsa_float_round_mode_16_64 0
		.amdhsa_float_denorm_mode_32 3
		.amdhsa_float_denorm_mode_16_64 3
		.amdhsa_dx10_clamp 1
		.amdhsa_ieee_mode 1
		.amdhsa_fp16_overflow 0
		.amdhsa_tg_split 0
		.amdhsa_exception_fp_ieee_invalid_op 0
		.amdhsa_exception_fp_denorm_src 0
		.amdhsa_exception_fp_ieee_div_zero 0
		.amdhsa_exception_fp_ieee_overflow 0
		.amdhsa_exception_fp_ieee_underflow 0
		.amdhsa_exception_fp_ieee_inexact 0
		.amdhsa_exception_int_div_zero 0
	.end_amdhsa_kernel
	.section	.text._ZN4vllm18convert_fp8_kernelIfhLNS_18Fp8KVCacheDataTypeE1EEEvPKT0_PT_fl,"axG",@progbits,_ZN4vllm18convert_fp8_kernelIfhLNS_18Fp8KVCacheDataTypeE1EEEvPKT0_PT_fl,comdat
.Lfunc_end37:
	.size	_ZN4vllm18convert_fp8_kernelIfhLNS_18Fp8KVCacheDataTypeE1EEEvPKT0_PT_fl, .Lfunc_end37-_ZN4vllm18convert_fp8_kernelIfhLNS_18Fp8KVCacheDataTypeE1EEEvPKT0_PT_fl
                                        ; -- End function
	.section	.AMDGPU.csdata,"",@progbits
; Kernel info:
; codeLenInByte = 372
; NumSgprs: 22
; NumVgprs: 15
; NumAgprs: 0
; TotalNumVgprs: 15
; ScratchSize: 0
; MemoryBound: 0
; FloatMode: 240
; IeeeMode: 1
; LDSByteSize: 0 bytes/workgroup (compile time only)
; SGPRBlocks: 2
; VGPRBlocks: 1
; NumSGPRsForWavesPerEU: 22
; NumVGPRsForWavesPerEU: 15
; AccumOffset: 16
; Occupancy: 8
; WaveLimiterHint : 0
; COMPUTE_PGM_RSRC2:SCRATCH_EN: 0
; COMPUTE_PGM_RSRC2:USER_SGPR: 6
; COMPUTE_PGM_RSRC2:TRAP_HANDLER: 0
; COMPUTE_PGM_RSRC2:TGID_X_EN: 1
; COMPUTE_PGM_RSRC2:TGID_Y_EN: 0
; COMPUTE_PGM_RSRC2:TGID_Z_EN: 0
; COMPUTE_PGM_RSRC2:TIDIG_COMP_CNT: 0
; COMPUTE_PGM_RSRC3_GFX90A:ACCUM_OFFSET: 3
; COMPUTE_PGM_RSRC3_GFX90A:TG_SPLIT: 0
	.section	.text._ZN4vllm18convert_fp8_kernelIthLNS_18Fp8KVCacheDataTypeE1EEEvPKT0_PT_fl,"axG",@progbits,_ZN4vllm18convert_fp8_kernelIthLNS_18Fp8KVCacheDataTypeE1EEEvPKT0_PT_fl,comdat
	.protected	_ZN4vllm18convert_fp8_kernelIthLNS_18Fp8KVCacheDataTypeE1EEEvPKT0_PT_fl ; -- Begin function _ZN4vllm18convert_fp8_kernelIthLNS_18Fp8KVCacheDataTypeE1EEEvPKT0_PT_fl
	.globl	_ZN4vllm18convert_fp8_kernelIthLNS_18Fp8KVCacheDataTypeE1EEEvPKT0_PT_fl
	.p2align	8
	.type	_ZN4vllm18convert_fp8_kernelIthLNS_18Fp8KVCacheDataTypeE1EEEvPKT0_PT_fl,@function
_ZN4vllm18convert_fp8_kernelIthLNS_18Fp8KVCacheDataTypeE1EEEvPKT0_PT_fl: ; @_ZN4vllm18convert_fp8_kernelIthLNS_18Fp8KVCacheDataTypeE1EEEvPKT0_PT_fl
; %bb.0:
	s_load_dwordx2 s[8:9], s[4:5], 0x18
	v_mov_b32_e32 v1, 0
	s_waitcnt lgkmcnt(0)
	v_cmp_gt_i64_e32 vcc, s[8:9], v[0:1]
	s_and_saveexec_b64 s[0:1], vcc
	s_cbranch_execz .LBB38_9
; %bb.1:
	s_load_dwordx4 s[0:3], s[4:5], 0x0
	s_load_dword s14, s[4:5], 0x10
	s_load_dword s7, s[4:5], 0x2c
	s_mul_i32 s4, s6, s9
	s_mul_hi_u32 s5, s6, s8
	s_add_i32 s10, s5, s4
	s_mul_i32 s15, s6, s8
	s_waitcnt lgkmcnt(0)
	s_and_b32 s16, s7, 0xffff
	v_add_u32_e32 v2, s16, v0
	s_mov_b64 s[4:5], 0
	v_mov_b32_e32 v5, s10
	v_mov_b32_e32 v6, s1
	s_movk_i32 s1, 0x80
	s_movk_i32 s17, 0x7f
	v_mov_b32_e32 v7, s3
	v_bfrev_b32_e32 v8, 60
	s_branch .LBB38_5
.LBB38_2:                               ;   in Loop: Header=BB38_5 Depth=1
	s_or_b64 exec, exec, s[12:13]
.LBB38_3:                               ;   in Loop: Header=BB38_5 Depth=1
	s_or_b64 exec, exec, s[10:11]
.LBB38_4:                               ;   in Loop: Header=BB38_5 Depth=1
	s_or_b64 exec, exec, s[6:7]
	v_lshlrev_b64 v[0:1], 1, v[0:1]
	v_add_co_u32_e32 v0, vcc, s2, v0
	v_fma_mixlo_f16 v3, v9, s14, 0
	v_addc_co_u32_e32 v1, vcc, v7, v1, vcc
	global_store_short v[0:1], v3, off
	v_ashrrev_i32_e32 v3, 31, v2
	v_cmp_le_i64_e32 vcc, s[8:9], v[2:3]
	v_pk_mov_b32 v[0:1], v[2:3], v[2:3] op_sel:[0,1]
	s_or_b64 s[4:5], vcc, s[4:5]
	v_add_u32_e32 v2, s16, v2
	s_andn2_b64 exec, exec, s[4:5]
	s_cbranch_execz .LBB38_9
.LBB38_5:                               ; =>This Inner Loop Header: Depth=1
	v_add_co_u32_e32 v0, vcc, s15, v0
	v_addc_co_u32_e32 v1, vcc, v1, v5, vcc
	v_add_co_u32_e32 v10, vcc, s0, v0
	v_addc_co_u32_e32 v11, vcc, v6, v1, vcc
	global_load_ubyte v3, v[10:11], off
	v_mov_b32_e32 v9, 0
	s_waitcnt vmcnt(0)
	v_cmp_ne_u16_e32 vcc, 0, v3
	s_and_saveexec_b64 s[6:7], vcc
	s_cbranch_execz .LBB38_4
; %bb.6:                                ;   in Loop: Header=BB38_5 Depth=1
	v_cmp_ne_u16_e32 vcc, s1, v3
	v_bfrev_b32_e32 v9, 1
	s_and_saveexec_b64 s[10:11], vcc
	s_cbranch_execz .LBB38_3
; %bb.7:                                ;   in Loop: Header=BB38_5 Depth=1
	v_and_b32_e32 v4, 0xffff, v3
	v_and_b32_e32 v10, 0x7f, v4
	v_cmp_ne_u32_e32 vcc, s17, v10
	v_mov_b32_e32 v9, 0x7f800001
	s_and_saveexec_b64 s[12:13], vcc
	s_cbranch_execz .LBB38_2
; %bb.8:                                ;   in Loop: Header=BB38_5 Depth=1
	v_and_b32_e32 v9, 7, v4
	v_ffbh_u32_e32 v12, v9
	v_min_u32_e32 v14, 32, v12
	v_subrev_u32_e32 v12, 28, v14
	v_lshlrev_b64 v[12:13], v12, v[4:5]
	v_lshrrev_b32_e32 v11, 3, v10
	v_sub_u32_e32 v4, 29, v14
	v_and_b32_e32 v12, 7, v12
	v_cmp_gt_u32_e32 vcc, 8, v10
	v_cndmask_b32_e32 v4, v11, v4, vcc
	v_cndmask_b32_e32 v9, v9, v12, vcc
	v_lshlrev_b32_e32 v3, 24, v3
	v_lshlrev_b32_e32 v9, 20, v9
	v_and_b32_e32 v3, 0x80000000, v3
	v_lshl_add_u32 v4, v4, 23, v8
	v_or3_b32 v9, v3, v4, v9
	s_branch .LBB38_2
.LBB38_9:
	s_endpgm
	.section	.rodata,"a",@progbits
	.p2align	6, 0x0
	.amdhsa_kernel _ZN4vllm18convert_fp8_kernelIthLNS_18Fp8KVCacheDataTypeE1EEEvPKT0_PT_fl
		.amdhsa_group_segment_fixed_size 0
		.amdhsa_private_segment_fixed_size 0
		.amdhsa_kernarg_size 288
		.amdhsa_user_sgpr_count 6
		.amdhsa_user_sgpr_private_segment_buffer 1
		.amdhsa_user_sgpr_dispatch_ptr 0
		.amdhsa_user_sgpr_queue_ptr 0
		.amdhsa_user_sgpr_kernarg_segment_ptr 1
		.amdhsa_user_sgpr_dispatch_id 0
		.amdhsa_user_sgpr_flat_scratch_init 0
		.amdhsa_user_sgpr_kernarg_preload_length 0
		.amdhsa_user_sgpr_kernarg_preload_offset 0
		.amdhsa_user_sgpr_private_segment_size 0
		.amdhsa_uses_dynamic_stack 0
		.amdhsa_system_sgpr_private_segment_wavefront_offset 0
		.amdhsa_system_sgpr_workgroup_id_x 1
		.amdhsa_system_sgpr_workgroup_id_y 0
		.amdhsa_system_sgpr_workgroup_id_z 0
		.amdhsa_system_sgpr_workgroup_info 0
		.amdhsa_system_vgpr_workitem_id 0
		.amdhsa_next_free_vgpr 15
		.amdhsa_next_free_sgpr 18
		.amdhsa_accum_offset 16
		.amdhsa_reserve_vcc 1
		.amdhsa_reserve_flat_scratch 0
		.amdhsa_float_round_mode_32 0
		.amdhsa_float_round_mode_16_64 0
		.amdhsa_float_denorm_mode_32 3
		.amdhsa_float_denorm_mode_16_64 3
		.amdhsa_dx10_clamp 1
		.amdhsa_ieee_mode 1
		.amdhsa_fp16_overflow 0
		.amdhsa_tg_split 0
		.amdhsa_exception_fp_ieee_invalid_op 0
		.amdhsa_exception_fp_denorm_src 0
		.amdhsa_exception_fp_ieee_div_zero 0
		.amdhsa_exception_fp_ieee_overflow 0
		.amdhsa_exception_fp_ieee_underflow 0
		.amdhsa_exception_fp_ieee_inexact 0
		.amdhsa_exception_int_div_zero 0
	.end_amdhsa_kernel
	.section	.text._ZN4vllm18convert_fp8_kernelIthLNS_18Fp8KVCacheDataTypeE1EEEvPKT0_PT_fl,"axG",@progbits,_ZN4vllm18convert_fp8_kernelIthLNS_18Fp8KVCacheDataTypeE1EEEvPKT0_PT_fl,comdat
.Lfunc_end38:
	.size	_ZN4vllm18convert_fp8_kernelIthLNS_18Fp8KVCacheDataTypeE1EEEvPKT0_PT_fl, .Lfunc_end38-_ZN4vllm18convert_fp8_kernelIthLNS_18Fp8KVCacheDataTypeE1EEEvPKT0_PT_fl
                                        ; -- End function
	.section	.AMDGPU.csdata,"",@progbits
; Kernel info:
; codeLenInByte = 376
; NumSgprs: 22
; NumVgprs: 15
; NumAgprs: 0
; TotalNumVgprs: 15
; ScratchSize: 0
; MemoryBound: 0
; FloatMode: 240
; IeeeMode: 1
; LDSByteSize: 0 bytes/workgroup (compile time only)
; SGPRBlocks: 2
; VGPRBlocks: 1
; NumSGPRsForWavesPerEU: 22
; NumVGPRsForWavesPerEU: 15
; AccumOffset: 16
; Occupancy: 8
; WaveLimiterHint : 0
; COMPUTE_PGM_RSRC2:SCRATCH_EN: 0
; COMPUTE_PGM_RSRC2:USER_SGPR: 6
; COMPUTE_PGM_RSRC2:TRAP_HANDLER: 0
; COMPUTE_PGM_RSRC2:TGID_X_EN: 1
; COMPUTE_PGM_RSRC2:TGID_Y_EN: 0
; COMPUTE_PGM_RSRC2:TGID_Z_EN: 0
; COMPUTE_PGM_RSRC2:TIDIG_COMP_CNT: 0
; COMPUTE_PGM_RSRC3_GFX90A:ACCUM_OFFSET: 3
; COMPUTE_PGM_RSRC3_GFX90A:TG_SPLIT: 0
	.section	.text._ZN4vllm18convert_fp8_kernelI14__hip_bfloat16hLNS_18Fp8KVCacheDataTypeE1EEEvPKT0_PT_fl,"axG",@progbits,_ZN4vllm18convert_fp8_kernelI14__hip_bfloat16hLNS_18Fp8KVCacheDataTypeE1EEEvPKT0_PT_fl,comdat
	.protected	_ZN4vllm18convert_fp8_kernelI14__hip_bfloat16hLNS_18Fp8KVCacheDataTypeE1EEEvPKT0_PT_fl ; -- Begin function _ZN4vllm18convert_fp8_kernelI14__hip_bfloat16hLNS_18Fp8KVCacheDataTypeE1EEEvPKT0_PT_fl
	.globl	_ZN4vllm18convert_fp8_kernelI14__hip_bfloat16hLNS_18Fp8KVCacheDataTypeE1EEEvPKT0_PT_fl
	.p2align	8
	.type	_ZN4vllm18convert_fp8_kernelI14__hip_bfloat16hLNS_18Fp8KVCacheDataTypeE1EEEvPKT0_PT_fl,@function
_ZN4vllm18convert_fp8_kernelI14__hip_bfloat16hLNS_18Fp8KVCacheDataTypeE1EEEvPKT0_PT_fl: ; @_ZN4vllm18convert_fp8_kernelI14__hip_bfloat16hLNS_18Fp8KVCacheDataTypeE1EEEvPKT0_PT_fl
; %bb.0:
	s_load_dwordx2 s[8:9], s[4:5], 0x18
	v_mov_b32_e32 v1, 0
	s_waitcnt lgkmcnt(0)
	v_cmp_gt_i64_e32 vcc, s[8:9], v[0:1]
	s_and_saveexec_b64 s[0:1], vcc
	s_cbranch_execz .LBB39_13
; %bb.1:
	s_load_dwordx4 s[0:3], s[4:5], 0x0
	s_load_dword s14, s[4:5], 0x10
	s_load_dword s7, s[4:5], 0x2c
	s_mul_i32 s4, s6, s9
	s_mul_hi_u32 s5, s6, s8
	s_add_i32 s10, s5, s4
	s_mul_i32 s15, s6, s8
	s_waitcnt lgkmcnt(0)
	s_and_b32 s16, s7, 0xffff
	v_add_u32_e32 v2, s16, v0
	s_mov_b64 s[4:5], 0
	v_mov_b32_e32 v6, s10
	v_mov_b32_e32 v7, s1
	s_movk_i32 s1, 0x80
	s_movk_i32 s17, 0x7f
	s_mov_b32 s18, 0x7f800000
	s_movk_i32 s19, 0x7fff
	v_mov_b32_e32 v8, s3
	v_bfrev_b32_e32 v9, 60
	v_pk_mov_b32 v[4:5], v[0:1], v[0:1] op_sel:[0,1]
	s_branch .LBB39_3
.LBB39_2:                               ;   in Loop: Header=BB39_3 Depth=1
	s_or_b64 exec, exec, s[6:7]
	v_lshlrev_b64 v[4:5], 1, v[4:5]
	v_add_co_u32_e32 v4, vcc, s2, v4
	v_addc_co_u32_e32 v5, vcc, v8, v5, vcc
	v_ashrrev_i32_e32 v3, 31, v2
	v_cmp_le_i64_e32 vcc, s[8:9], v[2:3]
	global_store_short_d16_hi v[4:5], v0, off
	v_pk_mov_b32 v[4:5], v[2:3], v[2:3] op_sel:[0,1]
	s_or_b64 s[4:5], vcc, s[4:5]
	v_add_u32_e32 v2, s16, v2
	s_andn2_b64 exec, exec, s[4:5]
	s_cbranch_execz .LBB39_13
.LBB39_3:                               ; =>This Inner Loop Header: Depth=1
	v_add_co_u32_e32 v4, vcc, s15, v4
	v_addc_co_u32_e32 v5, vcc, v5, v6, vcc
	v_add_co_u32_e32 v10, vcc, s0, v4
	v_addc_co_u32_e32 v11, vcc, v7, v5, vcc
	global_load_ubyte v3, v[10:11], off
	v_mov_b32_e32 v10, 0
	s_waitcnt vmcnt(0)
	v_cmp_ne_u16_e32 vcc, 0, v3
	s_and_saveexec_b64 s[6:7], vcc
	s_cbranch_execz .LBB39_9
; %bb.4:                                ;   in Loop: Header=BB39_3 Depth=1
	v_cmp_ne_u16_e32 vcc, s1, v3
	v_bfrev_b32_e32 v10, 1
	s_and_saveexec_b64 s[10:11], vcc
	s_cbranch_execz .LBB39_8
; %bb.5:                                ;   in Loop: Header=BB39_3 Depth=1
	v_and_b32_e32 v0, 0xffff, v3
	v_and_b32_e32 v11, 0x7f, v0
	v_cmp_ne_u32_e32 vcc, s17, v11
	v_mov_b32_e32 v10, 0x7f800001
	s_and_saveexec_b64 s[12:13], vcc
	s_cbranch_execz .LBB39_7
; %bb.6:                                ;   in Loop: Header=BB39_3 Depth=1
	v_and_b32_e32 v10, 7, v0
	v_ffbh_u32_e32 v12, v10
	v_min_u32_e32 v15, 32, v12
	v_subrev_u32_e32 v12, 28, v15
	v_lshlrev_b64 v[12:13], v12, v[0:1]
	v_lshrrev_b32_e32 v14, 3, v11
	v_sub_u32_e32 v0, 29, v15
	v_and_b32_e32 v12, 7, v12
	v_cmp_gt_u32_e32 vcc, 8, v11
	v_cndmask_b32_e32 v0, v14, v0, vcc
	v_cndmask_b32_e32 v10, v10, v12, vcc
	v_lshlrev_b32_e32 v3, 24, v3
	v_lshlrev_b32_e32 v10, 20, v10
	v_and_b32_e32 v3, 0x80000000, v3
	v_lshl_add_u32 v0, v0, 23, v9
	v_or3_b32 v10, v3, v0, v10
.LBB39_7:                               ;   in Loop: Header=BB39_3 Depth=1
	s_or_b64 exec, exec, s[12:13]
.LBB39_8:                               ;   in Loop: Header=BB39_3 Depth=1
	s_or_b64 exec, exec, s[10:11]
.LBB39_9:                               ;   in Loop: Header=BB39_3 Depth=1
	s_or_b64 exec, exec, s[6:7]
	v_mul_f32_e32 v3, s14, v10
	v_and_b32_e32 v0, 0x7f800000, v3
	v_cmp_ne_u32_e32 vcc, s18, v0
                                        ; implicit-def: $vgpr0
	s_and_saveexec_b64 s[6:7], vcc
	s_xor_b64 s[6:7], exec, s[6:7]
; %bb.10:                               ;   in Loop: Header=BB39_3 Depth=1
	v_bfe_u32 v0, v3, 16, 1
	v_add3_u32 v0, v3, v0, s19
                                        ; implicit-def: $vgpr3
; %bb.11:                               ;   in Loop: Header=BB39_3 Depth=1
	s_andn2_saveexec_b64 s[6:7], s[6:7]
	s_cbranch_execz .LBB39_2
; %bb.12:                               ;   in Loop: Header=BB39_3 Depth=1
	v_or_b32_e32 v0, 0x10000, v3
	v_cmp_eq_u32_sdwa vcc, v3, v1 src0_sel:WORD_0 src1_sel:DWORD
	v_cndmask_b32_e32 v0, v0, v3, vcc
	s_branch .LBB39_2
.LBB39_13:
	s_endpgm
	.section	.rodata,"a",@progbits
	.p2align	6, 0x0
	.amdhsa_kernel _ZN4vllm18convert_fp8_kernelI14__hip_bfloat16hLNS_18Fp8KVCacheDataTypeE1EEEvPKT0_PT_fl
		.amdhsa_group_segment_fixed_size 0
		.amdhsa_private_segment_fixed_size 0
		.amdhsa_kernarg_size 288
		.amdhsa_user_sgpr_count 6
		.amdhsa_user_sgpr_private_segment_buffer 1
		.amdhsa_user_sgpr_dispatch_ptr 0
		.amdhsa_user_sgpr_queue_ptr 0
		.amdhsa_user_sgpr_kernarg_segment_ptr 1
		.amdhsa_user_sgpr_dispatch_id 0
		.amdhsa_user_sgpr_flat_scratch_init 0
		.amdhsa_user_sgpr_kernarg_preload_length 0
		.amdhsa_user_sgpr_kernarg_preload_offset 0
		.amdhsa_user_sgpr_private_segment_size 0
		.amdhsa_uses_dynamic_stack 0
		.amdhsa_system_sgpr_private_segment_wavefront_offset 0
		.amdhsa_system_sgpr_workgroup_id_x 1
		.amdhsa_system_sgpr_workgroup_id_y 0
		.amdhsa_system_sgpr_workgroup_id_z 0
		.amdhsa_system_sgpr_workgroup_info 0
		.amdhsa_system_vgpr_workitem_id 0
		.amdhsa_next_free_vgpr 16
		.amdhsa_next_free_sgpr 20
		.amdhsa_accum_offset 16
		.amdhsa_reserve_vcc 1
		.amdhsa_reserve_flat_scratch 0
		.amdhsa_float_round_mode_32 0
		.amdhsa_float_round_mode_16_64 0
		.amdhsa_float_denorm_mode_32 3
		.amdhsa_float_denorm_mode_16_64 3
		.amdhsa_dx10_clamp 1
		.amdhsa_ieee_mode 1
		.amdhsa_fp16_overflow 0
		.amdhsa_tg_split 0
		.amdhsa_exception_fp_ieee_invalid_op 0
		.amdhsa_exception_fp_denorm_src 0
		.amdhsa_exception_fp_ieee_div_zero 0
		.amdhsa_exception_fp_ieee_overflow 0
		.amdhsa_exception_fp_ieee_underflow 0
		.amdhsa_exception_fp_ieee_inexact 0
		.amdhsa_exception_int_div_zero 0
	.end_amdhsa_kernel
	.section	.text._ZN4vllm18convert_fp8_kernelI14__hip_bfloat16hLNS_18Fp8KVCacheDataTypeE1EEEvPKT0_PT_fl,"axG",@progbits,_ZN4vllm18convert_fp8_kernelI14__hip_bfloat16hLNS_18Fp8KVCacheDataTypeE1EEEvPKT0_PT_fl,comdat
.Lfunc_end39:
	.size	_ZN4vllm18convert_fp8_kernelI14__hip_bfloat16hLNS_18Fp8KVCacheDataTypeE1EEEvPKT0_PT_fl, .Lfunc_end39-_ZN4vllm18convert_fp8_kernelI14__hip_bfloat16hLNS_18Fp8KVCacheDataTypeE1EEEvPKT0_PT_fl
                                        ; -- End function
	.section	.AMDGPU.csdata,"",@progbits
; Kernel info:
; codeLenInByte = 460
; NumSgprs: 24
; NumVgprs: 16
; NumAgprs: 0
; TotalNumVgprs: 16
; ScratchSize: 0
; MemoryBound: 0
; FloatMode: 240
; IeeeMode: 1
; LDSByteSize: 0 bytes/workgroup (compile time only)
; SGPRBlocks: 2
; VGPRBlocks: 1
; NumSGPRsForWavesPerEU: 24
; NumVGPRsForWavesPerEU: 16
; AccumOffset: 16
; Occupancy: 8
; WaveLimiterHint : 0
; COMPUTE_PGM_RSRC2:SCRATCH_EN: 0
; COMPUTE_PGM_RSRC2:USER_SGPR: 6
; COMPUTE_PGM_RSRC2:TRAP_HANDLER: 0
; COMPUTE_PGM_RSRC2:TGID_X_EN: 1
; COMPUTE_PGM_RSRC2:TGID_Y_EN: 0
; COMPUTE_PGM_RSRC2:TGID_Z_EN: 0
; COMPUTE_PGM_RSRC2:TIDIG_COMP_CNT: 0
; COMPUTE_PGM_RSRC3_GFX90A:ACCUM_OFFSET: 3
; COMPUTE_PGM_RSRC3_GFX90A:TG_SPLIT: 0
	.section	.text._ZN4vllm30gather_and_maybe_dequant_cacheIffLNS_18Fp8KVCacheDataTypeE0EEEvPKT0_PT_PKiS8_iillllPKfS8_,"axG",@progbits,_ZN4vllm30gather_and_maybe_dequant_cacheIffLNS_18Fp8KVCacheDataTypeE0EEEvPKT0_PT_PKiS8_iillllPKfS8_,comdat
	.protected	_ZN4vllm30gather_and_maybe_dequant_cacheIffLNS_18Fp8KVCacheDataTypeE0EEEvPKT0_PT_PKiS8_iillllPKfS8_ ; -- Begin function _ZN4vllm30gather_and_maybe_dequant_cacheIffLNS_18Fp8KVCacheDataTypeE0EEEvPKT0_PT_PKiS8_iillllPKfS8_
	.globl	_ZN4vllm30gather_and_maybe_dequant_cacheIffLNS_18Fp8KVCacheDataTypeE0EEEvPKT0_PT_PKiS8_iillllPKfS8_
	.p2align	8
	.type	_ZN4vllm30gather_and_maybe_dequant_cacheIffLNS_18Fp8KVCacheDataTypeE0EEEvPKT0_PT_PKiS8_iillllPKfS8_,@function
_ZN4vllm30gather_and_maybe_dequant_cacheIffLNS_18Fp8KVCacheDataTypeE0EEEvPKT0_PT_PKiS8_iillllPKfS8_: ; @_ZN4vllm30gather_and_maybe_dequant_cacheIffLNS_18Fp8KVCacheDataTypeE0EEEvPKT0_PT_PKiS8_iillllPKfS8_
; %bb.0:
	s_load_dwordx4 s[16:19], s[4:5], 0x18
	s_load_dword s1, s[4:5], 0x5c
	s_mov_b32 s0, s7
	s_mov_b32 s7, 0
	s_add_u32 s20, s4, 0x58
	s_addc_u32 s21, s5, 0
	s_lshl_b64 s[8:9], s[6:7], 2
	s_waitcnt lgkmcnt(0)
	s_add_u32 s2, s16, s8
	s_addc_u32 s3, s17, s9
	s_abs_i32 s7, s18
	v_cvt_f32_u32_e32 v1, s7
	s_load_dwordx2 s[26:27], s[2:3], 0x0
	s_sub_i32 s10, 0, s7
	s_ashr_i32 s14, s18, 31
	v_rcp_iflag_f32_e32 v1, v1
	s_waitcnt lgkmcnt(0)
	s_sub_i32 s12, s27, s26
	s_add_i32 s2, s18, s12
	v_mul_f32_e32 v1, 0x4f7ffffe, v1
	v_cvt_u32_f32_e32 v1, v1
	s_add_i32 s2, s2, -1
	s_ashr_i32 s3, s2, 31
	s_abs_i32 s2, s2
	v_readfirstlane_b32 s13, v1
	s_mul_i32 s10, s10, s13
	s_mul_hi_u32 s10, s13, s10
	s_add_i32 s13, s13, s10
	s_mul_hi_u32 s10, s2, s13
	s_mul_i32 s11, s10, s7
	s_sub_i32 s2, s2, s11
	s_xor_b32 s3, s3, s14
	s_add_i32 s11, s10, 1
	s_sub_i32 s15, s2, s7
	s_cmp_ge_u32 s2, s7
	s_cselect_b32 s10, s11, s10
	s_cselect_b32 s2, s15, s2
	s_add_i32 s11, s10, 1
	s_cmp_ge_u32 s2, s7
	s_cselect_b32 s2, s11, s10
	s_abs_i32 s10, s1
	v_cvt_f32_u32_e32 v1, s10
	s_xor_b32 s2, s2, s3
	s_sub_i32 s15, s2, s3
	s_sub_i32 s3, 0, s10
	v_rcp_iflag_f32_e32 v1, v1
	s_add_i32 s2, s1, s15
	s_add_i32 s2, s2, -1
	s_xor_b32 s1, s2, s1
	v_mul_f32_e32 v1, 0x4f7ffffe, v1
	v_cvt_u32_f32_e32 v1, v1
	s_abs_i32 s2, s2
	s_ashr_i32 s1, s1, 31
	v_readfirstlane_b32 s11, v1
	s_mul_i32 s3, s3, s11
	s_mul_hi_u32 s3, s11, s3
	s_add_i32 s11, s11, s3
	s_mul_hi_u32 s3, s2, s11
	s_mul_i32 s11, s3, s10
	s_sub_i32 s2, s2, s11
	s_add_i32 s11, s3, 1
	s_sub_i32 s16, s2, s10
	s_cmp_ge_u32 s2, s10
	s_cselect_b32 s3, s11, s3
	s_cselect_b32 s2, s16, s2
	s_add_i32 s11, s3, 1
	s_cmp_ge_u32 s2, s10
	s_cselect_b32 s2, s11, s3
	s_xor_b32 s2, s2, s1
	s_sub_i32 s17, s2, s1
	s_mul_i32 s16, s17, s0
	s_cmp_ge_i32 s16, s15
	s_cbranch_scc1 .LBB40_21
; %bb.1:
	s_load_dwordx2 s[10:11], s[4:5], 0x50
	s_load_dwordx4 s[0:3], s[4:5], 0x8
	s_mov_b64 s[28:29], 0
	s_waitcnt lgkmcnt(0)
	s_cmp_eq_u64 s[10:11], 0
	s_cbranch_scc1 .LBB40_3
; %bb.2:
	s_add_u32 s8, s10, s8
	s_addc_u32 s9, s11, s9
	s_load_dword s8, s[8:9], 0x0
	s_waitcnt lgkmcnt(0)
	s_ashr_i32 s9, s8, 31
	s_abs_i32 s8, s8
	s_mul_hi_u32 s10, s8, s13
	s_mul_i32 s11, s10, s7
	s_sub_i32 s8, s8, s11
	s_xor_b32 s9, s9, s14
	s_add_i32 s14, s10, 1
	s_sub_i32 s11, s8, s7
	s_cmp_ge_u32 s8, s7
	s_cselect_b32 s10, s14, s10
	s_cselect_b32 s8, s11, s8
	s_add_i32 s11, s10, 1
	s_cmp_ge_u32 s8, s7
	s_cselect_b32 s8, s11, s10
	s_xor_b32 s8, s8, s9
	s_sub_i32 s28, s8, s9
	s_ashr_i32 s29, s28, 31
.LBB40_3:
	s_load_dwordx2 s[22:23], s[4:5], 0x0
	s_add_i32 s8, s16, s17
	s_min_i32 s24, s8, s15
	s_cmp_gt_i32 s15, s8
	s_mov_b32 s27, 0
	s_cbranch_scc1 .LBB40_5
; %bb.4:
	s_abs_i32 s9, s12
	s_mul_hi_u32 s10, s9, s13
	s_mul_i32 s10, s10, s7
	s_sub_i32 s9, s9, s10
	s_ashr_i32 s8, s12, 31
	s_sub_i32 s10, s9, s7
	s_cmp_ge_u32 s9, s7
	s_cselect_b32 s9, s10, s9
	s_sub_i32 s10, s9, s7
	s_cmp_ge_u32 s9, s7
	s_cselect_b32 s7, s10, s9
	s_xor_b32 s7, s7, s8
	s_sub_i32 s27, s7, s8
	s_cmp_lg_u32 s27, 0
	s_cselect_b64 s[8:9], -1, 0
	s_cmp_lg_u64 s[8:9], 0
	s_subb_u32 s24, s24, 0
.LBB40_5:
	s_load_dwordx8 s[8:15], s[4:5], 0x28
	s_waitcnt lgkmcnt(0)
	s_mul_i32 s4, s6, s8
	s_ashr_i32 s5, s4, 31
	s_lshl_b64 s[4:5], s[4:5], 2
	s_add_u32 s4, s2, s4
	s_addc_u32 s5, s3, s5
	s_lshl_b64 s[2:3], s[28:29], 2
	s_add_u32 s28, s4, s2
	s_mul_i32 s6, s26, s15
	s_mul_hi_u32 s7, s26, s14
	s_addc_u32 s29, s5, s3
	s_ashr_i32 s2, s26, 31
	s_add_i32 s3, s7, s6
	s_mul_i32 s2, s2, s14
	s_add_i32 s3, s3, s2
	s_mul_i32 s2, s26, s14
	s_lshl_b64 s[2:3], s[2:3], 2
	s_add_u32 s8, s0, s2
	s_addc_u32 s9, s1, s3
	s_cmp_ge_i32 s16, s24
	s_cbranch_scc1 .LBB40_14
; %bb.6:
	s_cmp_gt_i32 s18, 0
	s_cselect_b64 s[2:3], -1, 0
	v_cndmask_b32_e64 v1, 0, 1, s[2:3]
	v_cmp_gt_i32_e64 s[0:1], s19, v0
	v_cmp_ne_u32_e64 s[2:3], 1, v1
	s_branch .LBB40_8
.LBB40_7:                               ;   in Loop: Header=BB40_8 Depth=1
	s_add_i32 s16, s16, 1
	s_cmp_ge_i32 s16, s24
	s_cbranch_scc1 .LBB40_14
.LBB40_8:                               ; =>This Loop Header: Depth=1
                                        ;     Child Loop BB40_11 Depth 2
                                        ;       Child Loop BB40_13 Depth 3
	s_and_b64 vcc, exec, s[2:3]
	s_cbranch_vccnz .LBB40_7
; %bb.9:                                ;   in Loop: Header=BB40_8 Depth=1
	s_ashr_i32 s17, s16, 31
	s_lshl_b64 s[4:5], s[16:17], 2
	s_add_u32 s4, s28, s4
	s_addc_u32 s5, s29, s5
	s_load_dword s4, s[4:5], 0x0
	s_mov_b32 s31, 0
	s_waitcnt lgkmcnt(0)
	s_ashr_i32 s5, s4, 31
	s_mul_i32 s6, s4, s11
	s_mul_hi_u32 s7, s4, s10
	s_add_i32 s6, s7, s6
	s_mul_i32 s5, s5, s10
	s_mul_i32 s4, s4, s10
	s_add_i32 s5, s6, s5
	s_lshl_b64 s[4:5], s[4:5], 2
	s_add_u32 s17, s22, s4
	s_mul_i32 s4, s16, s18
	s_addc_u32 s25, s23, s5
	s_ashr_i32 s5, s4, 31
	s_mul_i32 s6, s4, s15
	s_mul_hi_u32 s7, s4, s14
	s_add_i32 s6, s7, s6
	s_mul_i32 s5, s5, s14
	s_add_i32 s5, s6, s5
	s_mul_i32 s4, s4, s14
	s_lshl_b64 s[4:5], s[4:5], 2
	s_add_u32 s26, s8, s4
	s_addc_u32 s30, s9, s5
	s_branch .LBB40_11
.LBB40_10:                              ;   in Loop: Header=BB40_11 Depth=2
	s_or_b64 exec, exec, s[4:5]
	s_add_i32 s31, s31, 1
	s_cmp_eq_u32 s31, s18
	s_cbranch_scc1 .LBB40_7
.LBB40_11:                              ;   Parent Loop BB40_8 Depth=1
                                        ; =>  This Loop Header: Depth=2
                                        ;       Child Loop BB40_13 Depth 3
	s_and_saveexec_b64 s[4:5], s[0:1]
	s_cbranch_execz .LBB40_10
; %bb.12:                               ;   in Loop: Header=BB40_11 Depth=2
	s_mul_i32 s6, s31, s13
	s_mul_hi_u32 s7, s31, s12
	s_add_i32 s7, s7, s6
	s_mul_i32 s6, s31, s12
	s_lshl_b64 s[6:7], s[6:7], 2
	s_add_u32 s33, s17, s6
	s_addc_u32 s36, s25, s7
	s_mul_i32 s6, s31, s15
	s_mul_hi_u32 s7, s31, s14
	s_load_dword s35, s[20:21], 0xc
	s_add_i32 s7, s7, s6
	s_mul_i32 s6, s31, s14
	s_lshl_b64 s[6:7], s[6:7], 2
	s_add_u32 s34, s26, s6
	s_addc_u32 s37, s30, s7
	s_waitcnt lgkmcnt(0)
	s_and_b32 s35, s35, 0xffff
	s_mov_b64 s[6:7], 0
	v_mov_b32_e32 v1, s36
	v_mov_b32_e32 v4, s37
	;; [unrolled: 1-line block ×3, first 2 shown]
.LBB40_13:                              ;   Parent Loop BB40_8 Depth=1
                                        ;     Parent Loop BB40_11 Depth=2
                                        ; =>    This Inner Loop Header: Depth=3
	v_ashrrev_i32_e32 v3, 31, v2
	v_lshlrev_b64 v[6:7], 2, v[2:3]
	v_add_co_u32_e32 v8, vcc, s33, v6
	v_addc_co_u32_e32 v9, vcc, v1, v7, vcc
	global_load_dword v3, v[8:9], off
	v_add_co_u32_e32 v6, vcc, s34, v6
	v_addc_co_u32_e32 v7, vcc, v4, v7, vcc
	v_add_u32_e32 v2, s35, v2
	v_cmp_le_i32_e32 vcc, s19, v2
	s_or_b64 s[6:7], vcc, s[6:7]
	s_waitcnt vmcnt(0)
	global_store_dword v[6:7], v3, off
	s_andn2_b64 exec, exec, s[6:7]
	s_cbranch_execnz .LBB40_13
	s_branch .LBB40_10
.LBB40_14:
	s_cmp_lg_u32 s27, 0
	s_cbranch_scc0 .LBB40_21
; %bb.15:
	s_cmp_lt_i32 s27, 1
	s_cbranch_scc1 .LBB40_21
; %bb.16:
	s_ashr_i32 s25, s24, 31
	s_lshl_b64 s[0:1], s[24:25], 2
	s_add_u32 s0, s28, s0
	s_addc_u32 s1, s29, s1
	s_load_dword s0, s[0:1], 0x0
	v_cmp_gt_i32_e32 vcc, s19, v0
	s_waitcnt lgkmcnt(0)
	s_ashr_i32 s1, s0, 31
	s_mul_i32 s2, s0, s11
	s_mul_hi_u32 s3, s0, s10
	s_add_i32 s2, s3, s2
	s_mul_i32 s1, s1, s10
	s_mul_i32 s0, s0, s10
	s_add_i32 s1, s2, s1
	s_lshl_b64 s[0:1], s[0:1], 2
	s_add_u32 s6, s22, s0
	s_mul_i32 s0, s24, s18
	s_addc_u32 s7, s23, s1
	s_ashr_i32 s1, s0, 31
	s_mul_i32 s2, s0, s15
	s_mul_hi_u32 s3, s0, s14
	s_add_i32 s2, s3, s2
	s_mul_i32 s1, s1, s14
	s_add_i32 s1, s2, s1
	s_mul_i32 s0, s0, s14
	s_lshl_b64 s[0:1], s[0:1], 2
	s_add_u32 s8, s8, s0
	s_addc_u32 s9, s9, s1
	s_mov_b32 s10, 0
	s_branch .LBB40_18
.LBB40_17:                              ;   in Loop: Header=BB40_18 Depth=1
	s_or_b64 exec, exec, s[2:3]
	s_add_i32 s10, s10, 1
	s_cmp_lg_u32 s10, s27
	s_cbranch_scc0 .LBB40_21
.LBB40_18:                              ; =>This Loop Header: Depth=1
                                        ;     Child Loop BB40_20 Depth 2
	s_and_saveexec_b64 s[2:3], vcc
	s_cbranch_execz .LBB40_17
; %bb.19:                               ;   in Loop: Header=BB40_18 Depth=1
	s_mul_i32 s0, s10, s13
	s_mul_hi_u32 s1, s10, s12
	s_add_i32 s1, s1, s0
	s_mul_i32 s0, s10, s12
	s_lshl_b64 s[0:1], s[0:1], 2
	s_add_u32 s11, s6, s0
	s_addc_u32 s18, s7, s1
	s_mul_i32 s0, s10, s15
	s_mul_hi_u32 s1, s10, s14
	s_load_dword s4, s[20:21], 0xc
	s_add_i32 s1, s1, s0
	s_mul_i32 s0, s10, s14
	s_lshl_b64 s[0:1], s[0:1], 2
	s_add_u32 s16, s8, s0
	s_addc_u32 s0, s9, s1
	s_waitcnt lgkmcnt(0)
	s_and_b32 s17, s4, 0xffff
	s_mov_b64 s[4:5], 0
	v_mov_b32_e32 v1, s18
	v_mov_b32_e32 v4, s0
	;; [unrolled: 1-line block ×3, first 2 shown]
.LBB40_20:                              ;   Parent Loop BB40_18 Depth=1
                                        ; =>  This Inner Loop Header: Depth=2
	v_ashrrev_i32_e32 v3, 31, v2
	v_lshlrev_b64 v[6:7], 2, v[2:3]
	v_add_co_u32_e64 v8, s[0:1], s11, v6
	v_addc_co_u32_e64 v9, s[0:1], v1, v7, s[0:1]
	global_load_dword v3, v[8:9], off
	v_add_co_u32_e64 v6, s[0:1], s16, v6
	v_addc_co_u32_e64 v7, s[0:1], v4, v7, s[0:1]
	v_add_u32_e32 v2, s17, v2
	v_cmp_le_i32_e64 s[0:1], s19, v2
	s_or_b64 s[4:5], s[0:1], s[4:5]
	s_waitcnt vmcnt(0)
	global_store_dword v[6:7], v3, off
	s_andn2_b64 exec, exec, s[4:5]
	s_cbranch_execnz .LBB40_20
	s_branch .LBB40_17
.LBB40_21:
	s_endpgm
	.section	.rodata,"a",@progbits
	.p2align	6, 0x0
	.amdhsa_kernel _ZN4vllm30gather_and_maybe_dequant_cacheIffLNS_18Fp8KVCacheDataTypeE0EEEvPKT0_PT_PKiS8_iillllPKfS8_
		.amdhsa_group_segment_fixed_size 0
		.amdhsa_private_segment_fixed_size 0
		.amdhsa_kernarg_size 344
		.amdhsa_user_sgpr_count 6
		.amdhsa_user_sgpr_private_segment_buffer 1
		.amdhsa_user_sgpr_dispatch_ptr 0
		.amdhsa_user_sgpr_queue_ptr 0
		.amdhsa_user_sgpr_kernarg_segment_ptr 1
		.amdhsa_user_sgpr_dispatch_id 0
		.amdhsa_user_sgpr_flat_scratch_init 0
		.amdhsa_user_sgpr_kernarg_preload_length 0
		.amdhsa_user_sgpr_kernarg_preload_offset 0
		.amdhsa_user_sgpr_private_segment_size 0
		.amdhsa_uses_dynamic_stack 0
		.amdhsa_system_sgpr_private_segment_wavefront_offset 0
		.amdhsa_system_sgpr_workgroup_id_x 1
		.amdhsa_system_sgpr_workgroup_id_y 1
		.amdhsa_system_sgpr_workgroup_id_z 0
		.amdhsa_system_sgpr_workgroup_info 0
		.amdhsa_system_vgpr_workitem_id 0
		.amdhsa_next_free_vgpr 10
		.amdhsa_next_free_sgpr 38
		.amdhsa_accum_offset 12
		.amdhsa_reserve_vcc 1
		.amdhsa_reserve_flat_scratch 0
		.amdhsa_float_round_mode_32 0
		.amdhsa_float_round_mode_16_64 0
		.amdhsa_float_denorm_mode_32 3
		.amdhsa_float_denorm_mode_16_64 3
		.amdhsa_dx10_clamp 1
		.amdhsa_ieee_mode 1
		.amdhsa_fp16_overflow 0
		.amdhsa_tg_split 0
		.amdhsa_exception_fp_ieee_invalid_op 0
		.amdhsa_exception_fp_denorm_src 0
		.amdhsa_exception_fp_ieee_div_zero 0
		.amdhsa_exception_fp_ieee_overflow 0
		.amdhsa_exception_fp_ieee_underflow 0
		.amdhsa_exception_fp_ieee_inexact 0
		.amdhsa_exception_int_div_zero 0
	.end_amdhsa_kernel
	.section	.text._ZN4vllm30gather_and_maybe_dequant_cacheIffLNS_18Fp8KVCacheDataTypeE0EEEvPKT0_PT_PKiS8_iillllPKfS8_,"axG",@progbits,_ZN4vllm30gather_and_maybe_dequant_cacheIffLNS_18Fp8KVCacheDataTypeE0EEEvPKT0_PT_PKiS8_iillllPKfS8_,comdat
.Lfunc_end40:
	.size	_ZN4vllm30gather_and_maybe_dequant_cacheIffLNS_18Fp8KVCacheDataTypeE0EEEvPKT0_PT_PKiS8_iillllPKfS8_, .Lfunc_end40-_ZN4vllm30gather_and_maybe_dequant_cacheIffLNS_18Fp8KVCacheDataTypeE0EEEvPKT0_PT_PKiS8_iillllPKfS8_
                                        ; -- End function
	.section	.AMDGPU.csdata,"",@progbits
; Kernel info:
; codeLenInByte = 1340
; NumSgprs: 42
; NumVgprs: 10
; NumAgprs: 0
; TotalNumVgprs: 10
; ScratchSize: 0
; MemoryBound: 0
; FloatMode: 240
; IeeeMode: 1
; LDSByteSize: 0 bytes/workgroup (compile time only)
; SGPRBlocks: 5
; VGPRBlocks: 1
; NumSGPRsForWavesPerEU: 42
; NumVGPRsForWavesPerEU: 10
; AccumOffset: 12
; Occupancy: 8
; WaveLimiterHint : 1
; COMPUTE_PGM_RSRC2:SCRATCH_EN: 0
; COMPUTE_PGM_RSRC2:USER_SGPR: 6
; COMPUTE_PGM_RSRC2:TRAP_HANDLER: 0
; COMPUTE_PGM_RSRC2:TGID_X_EN: 1
; COMPUTE_PGM_RSRC2:TGID_Y_EN: 1
; COMPUTE_PGM_RSRC2:TGID_Z_EN: 0
; COMPUTE_PGM_RSRC2:TIDIG_COMP_CNT: 0
; COMPUTE_PGM_RSRC3_GFX90A:ACCUM_OFFSET: 2
; COMPUTE_PGM_RSRC3_GFX90A:TG_SPLIT: 0
	.section	.text._ZN4vllm30gather_and_maybe_dequant_cacheIttLNS_18Fp8KVCacheDataTypeE0EEEvPKT0_PT_PKiS8_iillllPKfS8_,"axG",@progbits,_ZN4vllm30gather_and_maybe_dequant_cacheIttLNS_18Fp8KVCacheDataTypeE0EEEvPKT0_PT_PKiS8_iillllPKfS8_,comdat
	.protected	_ZN4vllm30gather_and_maybe_dequant_cacheIttLNS_18Fp8KVCacheDataTypeE0EEEvPKT0_PT_PKiS8_iillllPKfS8_ ; -- Begin function _ZN4vllm30gather_and_maybe_dequant_cacheIttLNS_18Fp8KVCacheDataTypeE0EEEvPKT0_PT_PKiS8_iillllPKfS8_
	.globl	_ZN4vllm30gather_and_maybe_dequant_cacheIttLNS_18Fp8KVCacheDataTypeE0EEEvPKT0_PT_PKiS8_iillllPKfS8_
	.p2align	8
	.type	_ZN4vllm30gather_and_maybe_dequant_cacheIttLNS_18Fp8KVCacheDataTypeE0EEEvPKT0_PT_PKiS8_iillllPKfS8_,@function
_ZN4vllm30gather_and_maybe_dequant_cacheIttLNS_18Fp8KVCacheDataTypeE0EEEvPKT0_PT_PKiS8_iillllPKfS8_: ; @_ZN4vllm30gather_and_maybe_dequant_cacheIttLNS_18Fp8KVCacheDataTypeE0EEEvPKT0_PT_PKiS8_iillllPKfS8_
; %bb.0:
	s_load_dwordx4 s[16:19], s[4:5], 0x18
	s_load_dword s1, s[4:5], 0x5c
	s_mov_b32 s0, s7
	s_mov_b32 s7, 0
	s_add_u32 s20, s4, 0x58
	s_addc_u32 s21, s5, 0
	s_lshl_b64 s[8:9], s[6:7], 2
	s_waitcnt lgkmcnt(0)
	s_add_u32 s2, s16, s8
	s_addc_u32 s3, s17, s9
	s_abs_i32 s7, s18
	v_cvt_f32_u32_e32 v1, s7
	s_load_dwordx2 s[26:27], s[2:3], 0x0
	s_sub_i32 s10, 0, s7
	s_ashr_i32 s14, s18, 31
	v_rcp_iflag_f32_e32 v1, v1
	s_waitcnt lgkmcnt(0)
	s_sub_i32 s12, s27, s26
	s_add_i32 s2, s18, s12
	v_mul_f32_e32 v1, 0x4f7ffffe, v1
	v_cvt_u32_f32_e32 v1, v1
	s_add_i32 s2, s2, -1
	s_ashr_i32 s3, s2, 31
	s_abs_i32 s2, s2
	v_readfirstlane_b32 s13, v1
	s_mul_i32 s10, s10, s13
	s_mul_hi_u32 s10, s13, s10
	s_add_i32 s13, s13, s10
	s_mul_hi_u32 s10, s2, s13
	s_mul_i32 s11, s10, s7
	s_sub_i32 s2, s2, s11
	s_xor_b32 s3, s3, s14
	s_add_i32 s11, s10, 1
	s_sub_i32 s15, s2, s7
	s_cmp_ge_u32 s2, s7
	s_cselect_b32 s10, s11, s10
	s_cselect_b32 s2, s15, s2
	s_add_i32 s11, s10, 1
	s_cmp_ge_u32 s2, s7
	s_cselect_b32 s2, s11, s10
	s_abs_i32 s10, s1
	v_cvt_f32_u32_e32 v1, s10
	s_xor_b32 s2, s2, s3
	s_sub_i32 s15, s2, s3
	s_sub_i32 s3, 0, s10
	v_rcp_iflag_f32_e32 v1, v1
	s_add_i32 s2, s1, s15
	s_add_i32 s2, s2, -1
	s_xor_b32 s1, s2, s1
	v_mul_f32_e32 v1, 0x4f7ffffe, v1
	v_cvt_u32_f32_e32 v1, v1
	s_abs_i32 s2, s2
	s_ashr_i32 s1, s1, 31
	v_readfirstlane_b32 s11, v1
	s_mul_i32 s3, s3, s11
	s_mul_hi_u32 s3, s11, s3
	s_add_i32 s11, s11, s3
	s_mul_hi_u32 s3, s2, s11
	s_mul_i32 s11, s3, s10
	s_sub_i32 s2, s2, s11
	s_add_i32 s11, s3, 1
	s_sub_i32 s16, s2, s10
	s_cmp_ge_u32 s2, s10
	s_cselect_b32 s3, s11, s3
	s_cselect_b32 s2, s16, s2
	s_add_i32 s11, s3, 1
	s_cmp_ge_u32 s2, s10
	s_cselect_b32 s2, s11, s3
	s_xor_b32 s2, s2, s1
	s_sub_i32 s17, s2, s1
	s_mul_i32 s16, s17, s0
	s_cmp_ge_i32 s16, s15
	s_cbranch_scc1 .LBB41_21
; %bb.1:
	s_load_dwordx2 s[10:11], s[4:5], 0x50
	s_load_dwordx4 s[0:3], s[4:5], 0x8
	s_mov_b64 s[28:29], 0
	s_waitcnt lgkmcnt(0)
	s_cmp_eq_u64 s[10:11], 0
	s_cbranch_scc1 .LBB41_3
; %bb.2:
	s_add_u32 s8, s10, s8
	s_addc_u32 s9, s11, s9
	s_load_dword s8, s[8:9], 0x0
	s_waitcnt lgkmcnt(0)
	s_ashr_i32 s9, s8, 31
	s_abs_i32 s8, s8
	s_mul_hi_u32 s10, s8, s13
	s_mul_i32 s11, s10, s7
	s_sub_i32 s8, s8, s11
	s_xor_b32 s9, s9, s14
	s_add_i32 s14, s10, 1
	s_sub_i32 s11, s8, s7
	s_cmp_ge_u32 s8, s7
	s_cselect_b32 s10, s14, s10
	s_cselect_b32 s8, s11, s8
	s_add_i32 s11, s10, 1
	s_cmp_ge_u32 s8, s7
	s_cselect_b32 s8, s11, s10
	s_xor_b32 s8, s8, s9
	s_sub_i32 s28, s8, s9
	s_ashr_i32 s29, s28, 31
.LBB41_3:
	s_load_dwordx2 s[22:23], s[4:5], 0x0
	s_add_i32 s8, s16, s17
	s_min_i32 s24, s8, s15
	s_cmp_gt_i32 s15, s8
	s_mov_b32 s27, 0
	s_cbranch_scc1 .LBB41_5
; %bb.4:
	s_abs_i32 s9, s12
	s_mul_hi_u32 s10, s9, s13
	s_mul_i32 s10, s10, s7
	s_sub_i32 s9, s9, s10
	s_ashr_i32 s8, s12, 31
	s_sub_i32 s10, s9, s7
	s_cmp_ge_u32 s9, s7
	s_cselect_b32 s9, s10, s9
	s_sub_i32 s10, s9, s7
	s_cmp_ge_u32 s9, s7
	s_cselect_b32 s7, s10, s9
	s_xor_b32 s7, s7, s8
	s_sub_i32 s27, s7, s8
	s_cmp_lg_u32 s27, 0
	s_cselect_b64 s[8:9], -1, 0
	s_cmp_lg_u64 s[8:9], 0
	s_subb_u32 s24, s24, 0
.LBB41_5:
	s_load_dwordx8 s[8:15], s[4:5], 0x28
	s_waitcnt lgkmcnt(0)
	s_mul_i32 s4, s6, s8
	s_ashr_i32 s5, s4, 31
	s_lshl_b64 s[4:5], s[4:5], 2
	s_add_u32 s4, s2, s4
	s_addc_u32 s5, s3, s5
	s_lshl_b64 s[2:3], s[28:29], 2
	s_add_u32 s28, s4, s2
	s_mul_i32 s6, s26, s15
	s_mul_hi_u32 s7, s26, s14
	s_addc_u32 s29, s5, s3
	s_ashr_i32 s2, s26, 31
	s_add_i32 s3, s7, s6
	s_mul_i32 s2, s2, s14
	s_add_i32 s3, s3, s2
	s_mul_i32 s2, s26, s14
	s_lshl_b64 s[2:3], s[2:3], 1
	s_add_u32 s8, s0, s2
	s_addc_u32 s9, s1, s3
	s_cmp_ge_i32 s16, s24
	s_cbranch_scc1 .LBB41_14
; %bb.6:
	s_cmp_gt_i32 s18, 0
	s_cselect_b64 s[2:3], -1, 0
	v_cndmask_b32_e64 v1, 0, 1, s[2:3]
	v_cmp_gt_i32_e64 s[0:1], s19, v0
	v_cmp_ne_u32_e64 s[2:3], 1, v1
	s_branch .LBB41_8
.LBB41_7:                               ;   in Loop: Header=BB41_8 Depth=1
	s_add_i32 s16, s16, 1
	s_cmp_ge_i32 s16, s24
	s_cbranch_scc1 .LBB41_14
.LBB41_8:                               ; =>This Loop Header: Depth=1
                                        ;     Child Loop BB41_11 Depth 2
                                        ;       Child Loop BB41_13 Depth 3
	s_and_b64 vcc, exec, s[2:3]
	s_cbranch_vccnz .LBB41_7
; %bb.9:                                ;   in Loop: Header=BB41_8 Depth=1
	s_ashr_i32 s17, s16, 31
	s_lshl_b64 s[4:5], s[16:17], 2
	s_add_u32 s4, s28, s4
	s_addc_u32 s5, s29, s5
	s_load_dword s4, s[4:5], 0x0
	s_mov_b32 s31, 0
	s_waitcnt lgkmcnt(0)
	s_ashr_i32 s5, s4, 31
	s_mul_i32 s6, s4, s11
	s_mul_hi_u32 s7, s4, s10
	s_add_i32 s6, s7, s6
	s_mul_i32 s5, s5, s10
	s_mul_i32 s4, s4, s10
	s_add_i32 s5, s6, s5
	s_lshl_b64 s[4:5], s[4:5], 1
	s_add_u32 s17, s22, s4
	s_mul_i32 s4, s16, s18
	s_addc_u32 s25, s23, s5
	s_ashr_i32 s5, s4, 31
	s_mul_i32 s6, s4, s15
	s_mul_hi_u32 s7, s4, s14
	s_add_i32 s6, s7, s6
	s_mul_i32 s5, s5, s14
	s_add_i32 s5, s6, s5
	s_mul_i32 s4, s4, s14
	s_lshl_b64 s[4:5], s[4:5], 1
	s_add_u32 s26, s8, s4
	s_addc_u32 s30, s9, s5
	s_branch .LBB41_11
.LBB41_10:                              ;   in Loop: Header=BB41_11 Depth=2
	s_or_b64 exec, exec, s[4:5]
	s_add_i32 s31, s31, 1
	s_cmp_eq_u32 s31, s18
	s_cbranch_scc1 .LBB41_7
.LBB41_11:                              ;   Parent Loop BB41_8 Depth=1
                                        ; =>  This Loop Header: Depth=2
                                        ;       Child Loop BB41_13 Depth 3
	s_and_saveexec_b64 s[4:5], s[0:1]
	s_cbranch_execz .LBB41_10
; %bb.12:                               ;   in Loop: Header=BB41_11 Depth=2
	s_mul_i32 s6, s31, s13
	s_mul_hi_u32 s7, s31, s12
	s_add_i32 s7, s7, s6
	s_mul_i32 s6, s31, s12
	s_lshl_b64 s[6:7], s[6:7], 1
	s_add_u32 s33, s17, s6
	s_addc_u32 s36, s25, s7
	s_mul_i32 s6, s31, s15
	s_mul_hi_u32 s7, s31, s14
	s_load_dword s35, s[20:21], 0xc
	s_add_i32 s7, s7, s6
	s_mul_i32 s6, s31, s14
	s_lshl_b64 s[6:7], s[6:7], 1
	s_add_u32 s34, s26, s6
	s_addc_u32 s37, s30, s7
	s_waitcnt lgkmcnt(0)
	s_and_b32 s35, s35, 0xffff
	s_mov_b64 s[6:7], 0
	v_mov_b32_e32 v1, s36
	v_mov_b32_e32 v4, s37
	;; [unrolled: 1-line block ×3, first 2 shown]
.LBB41_13:                              ;   Parent Loop BB41_8 Depth=1
                                        ;     Parent Loop BB41_11 Depth=2
                                        ; =>    This Inner Loop Header: Depth=3
	v_ashrrev_i32_e32 v3, 31, v2
	v_lshlrev_b64 v[6:7], 1, v[2:3]
	v_add_co_u32_e32 v8, vcc, s33, v6
	v_addc_co_u32_e32 v9, vcc, v1, v7, vcc
	global_load_ushort v3, v[8:9], off
	v_add_co_u32_e32 v6, vcc, s34, v6
	v_addc_co_u32_e32 v7, vcc, v4, v7, vcc
	v_add_u32_e32 v2, s35, v2
	v_cmp_le_i32_e32 vcc, s19, v2
	s_or_b64 s[6:7], vcc, s[6:7]
	s_waitcnt vmcnt(0)
	global_store_short v[6:7], v3, off
	s_andn2_b64 exec, exec, s[6:7]
	s_cbranch_execnz .LBB41_13
	s_branch .LBB41_10
.LBB41_14:
	s_cmp_lg_u32 s27, 0
	s_cbranch_scc0 .LBB41_21
; %bb.15:
	s_cmp_lt_i32 s27, 1
	s_cbranch_scc1 .LBB41_21
; %bb.16:
	s_ashr_i32 s25, s24, 31
	s_lshl_b64 s[0:1], s[24:25], 2
	s_add_u32 s0, s28, s0
	s_addc_u32 s1, s29, s1
	s_load_dword s0, s[0:1], 0x0
	v_cmp_gt_i32_e32 vcc, s19, v0
	s_waitcnt lgkmcnt(0)
	s_ashr_i32 s1, s0, 31
	s_mul_i32 s2, s0, s11
	s_mul_hi_u32 s3, s0, s10
	s_add_i32 s2, s3, s2
	s_mul_i32 s1, s1, s10
	s_mul_i32 s0, s0, s10
	s_add_i32 s1, s2, s1
	s_lshl_b64 s[0:1], s[0:1], 1
	s_add_u32 s6, s22, s0
	s_mul_i32 s0, s24, s18
	s_addc_u32 s7, s23, s1
	s_ashr_i32 s1, s0, 31
	s_mul_i32 s2, s0, s15
	s_mul_hi_u32 s3, s0, s14
	s_add_i32 s2, s3, s2
	s_mul_i32 s1, s1, s14
	s_add_i32 s1, s2, s1
	s_mul_i32 s0, s0, s14
	s_lshl_b64 s[0:1], s[0:1], 1
	s_add_u32 s8, s8, s0
	s_addc_u32 s9, s9, s1
	s_mov_b32 s10, 0
	s_branch .LBB41_18
.LBB41_17:                              ;   in Loop: Header=BB41_18 Depth=1
	s_or_b64 exec, exec, s[2:3]
	s_add_i32 s10, s10, 1
	s_cmp_lg_u32 s10, s27
	s_cbranch_scc0 .LBB41_21
.LBB41_18:                              ; =>This Loop Header: Depth=1
                                        ;     Child Loop BB41_20 Depth 2
	s_and_saveexec_b64 s[2:3], vcc
	s_cbranch_execz .LBB41_17
; %bb.19:                               ;   in Loop: Header=BB41_18 Depth=1
	s_mul_i32 s0, s10, s13
	s_mul_hi_u32 s1, s10, s12
	s_add_i32 s1, s1, s0
	s_mul_i32 s0, s10, s12
	s_lshl_b64 s[0:1], s[0:1], 1
	s_add_u32 s11, s6, s0
	s_addc_u32 s18, s7, s1
	s_mul_i32 s0, s10, s15
	s_mul_hi_u32 s1, s10, s14
	s_load_dword s4, s[20:21], 0xc
	s_add_i32 s1, s1, s0
	s_mul_i32 s0, s10, s14
	s_lshl_b64 s[0:1], s[0:1], 1
	s_add_u32 s16, s8, s0
	s_addc_u32 s0, s9, s1
	s_waitcnt lgkmcnt(0)
	s_and_b32 s17, s4, 0xffff
	s_mov_b64 s[4:5], 0
	v_mov_b32_e32 v1, s18
	v_mov_b32_e32 v4, s0
	;; [unrolled: 1-line block ×3, first 2 shown]
.LBB41_20:                              ;   Parent Loop BB41_18 Depth=1
                                        ; =>  This Inner Loop Header: Depth=2
	v_ashrrev_i32_e32 v3, 31, v2
	v_lshlrev_b64 v[6:7], 1, v[2:3]
	v_add_co_u32_e64 v8, s[0:1], s11, v6
	v_addc_co_u32_e64 v9, s[0:1], v1, v7, s[0:1]
	global_load_ushort v3, v[8:9], off
	v_add_co_u32_e64 v6, s[0:1], s16, v6
	v_addc_co_u32_e64 v7, s[0:1], v4, v7, s[0:1]
	v_add_u32_e32 v2, s17, v2
	v_cmp_le_i32_e64 s[0:1], s19, v2
	s_or_b64 s[4:5], s[0:1], s[4:5]
	s_waitcnt vmcnt(0)
	global_store_short v[6:7], v3, off
	s_andn2_b64 exec, exec, s[4:5]
	s_cbranch_execnz .LBB41_20
	s_branch .LBB41_17
.LBB41_21:
	s_endpgm
	.section	.rodata,"a",@progbits
	.p2align	6, 0x0
	.amdhsa_kernel _ZN4vllm30gather_and_maybe_dequant_cacheIttLNS_18Fp8KVCacheDataTypeE0EEEvPKT0_PT_PKiS8_iillllPKfS8_
		.amdhsa_group_segment_fixed_size 0
		.amdhsa_private_segment_fixed_size 0
		.amdhsa_kernarg_size 344
		.amdhsa_user_sgpr_count 6
		.amdhsa_user_sgpr_private_segment_buffer 1
		.amdhsa_user_sgpr_dispatch_ptr 0
		.amdhsa_user_sgpr_queue_ptr 0
		.amdhsa_user_sgpr_kernarg_segment_ptr 1
		.amdhsa_user_sgpr_dispatch_id 0
		.amdhsa_user_sgpr_flat_scratch_init 0
		.amdhsa_user_sgpr_kernarg_preload_length 0
		.amdhsa_user_sgpr_kernarg_preload_offset 0
		.amdhsa_user_sgpr_private_segment_size 0
		.amdhsa_uses_dynamic_stack 0
		.amdhsa_system_sgpr_private_segment_wavefront_offset 0
		.amdhsa_system_sgpr_workgroup_id_x 1
		.amdhsa_system_sgpr_workgroup_id_y 1
		.amdhsa_system_sgpr_workgroup_id_z 0
		.amdhsa_system_sgpr_workgroup_info 0
		.amdhsa_system_vgpr_workitem_id 0
		.amdhsa_next_free_vgpr 10
		.amdhsa_next_free_sgpr 38
		.amdhsa_accum_offset 12
		.amdhsa_reserve_vcc 1
		.amdhsa_reserve_flat_scratch 0
		.amdhsa_float_round_mode_32 0
		.amdhsa_float_round_mode_16_64 0
		.amdhsa_float_denorm_mode_32 3
		.amdhsa_float_denorm_mode_16_64 3
		.amdhsa_dx10_clamp 1
		.amdhsa_ieee_mode 1
		.amdhsa_fp16_overflow 0
		.amdhsa_tg_split 0
		.amdhsa_exception_fp_ieee_invalid_op 0
		.amdhsa_exception_fp_denorm_src 0
		.amdhsa_exception_fp_ieee_div_zero 0
		.amdhsa_exception_fp_ieee_overflow 0
		.amdhsa_exception_fp_ieee_underflow 0
		.amdhsa_exception_fp_ieee_inexact 0
		.amdhsa_exception_int_div_zero 0
	.end_amdhsa_kernel
	.section	.text._ZN4vllm30gather_and_maybe_dequant_cacheIttLNS_18Fp8KVCacheDataTypeE0EEEvPKT0_PT_PKiS8_iillllPKfS8_,"axG",@progbits,_ZN4vllm30gather_and_maybe_dequant_cacheIttLNS_18Fp8KVCacheDataTypeE0EEEvPKT0_PT_PKiS8_iillllPKfS8_,comdat
.Lfunc_end41:
	.size	_ZN4vllm30gather_and_maybe_dequant_cacheIttLNS_18Fp8KVCacheDataTypeE0EEEvPKT0_PT_PKiS8_iillllPKfS8_, .Lfunc_end41-_ZN4vllm30gather_and_maybe_dequant_cacheIttLNS_18Fp8KVCacheDataTypeE0EEEvPKT0_PT_PKiS8_iillllPKfS8_
                                        ; -- End function
	.section	.AMDGPU.csdata,"",@progbits
; Kernel info:
; codeLenInByte = 1340
; NumSgprs: 42
; NumVgprs: 10
; NumAgprs: 0
; TotalNumVgprs: 10
; ScratchSize: 0
; MemoryBound: 0
; FloatMode: 240
; IeeeMode: 1
; LDSByteSize: 0 bytes/workgroup (compile time only)
; SGPRBlocks: 5
; VGPRBlocks: 1
; NumSGPRsForWavesPerEU: 42
; NumVGPRsForWavesPerEU: 10
; AccumOffset: 12
; Occupancy: 8
; WaveLimiterHint : 1
; COMPUTE_PGM_RSRC2:SCRATCH_EN: 0
; COMPUTE_PGM_RSRC2:USER_SGPR: 6
; COMPUTE_PGM_RSRC2:TRAP_HANDLER: 0
; COMPUTE_PGM_RSRC2:TGID_X_EN: 1
; COMPUTE_PGM_RSRC2:TGID_Y_EN: 1
; COMPUTE_PGM_RSRC2:TGID_Z_EN: 0
; COMPUTE_PGM_RSRC2:TIDIG_COMP_CNT: 0
; COMPUTE_PGM_RSRC3_GFX90A:ACCUM_OFFSET: 2
; COMPUTE_PGM_RSRC3_GFX90A:TG_SPLIT: 0
	.section	.text._ZN4vllm30gather_and_maybe_dequant_cacheI14__hip_bfloat16S1_LNS_18Fp8KVCacheDataTypeE0EEEvPKT0_PT_PKiS9_iillllPKfS9_,"axG",@progbits,_ZN4vllm30gather_and_maybe_dequant_cacheI14__hip_bfloat16S1_LNS_18Fp8KVCacheDataTypeE0EEEvPKT0_PT_PKiS9_iillllPKfS9_,comdat
	.protected	_ZN4vllm30gather_and_maybe_dequant_cacheI14__hip_bfloat16S1_LNS_18Fp8KVCacheDataTypeE0EEEvPKT0_PT_PKiS9_iillllPKfS9_ ; -- Begin function _ZN4vllm30gather_and_maybe_dequant_cacheI14__hip_bfloat16S1_LNS_18Fp8KVCacheDataTypeE0EEEvPKT0_PT_PKiS9_iillllPKfS9_
	.globl	_ZN4vllm30gather_and_maybe_dequant_cacheI14__hip_bfloat16S1_LNS_18Fp8KVCacheDataTypeE0EEEvPKT0_PT_PKiS9_iillllPKfS9_
	.p2align	8
	.type	_ZN4vllm30gather_and_maybe_dequant_cacheI14__hip_bfloat16S1_LNS_18Fp8KVCacheDataTypeE0EEEvPKT0_PT_PKiS9_iillllPKfS9_,@function
_ZN4vllm30gather_and_maybe_dequant_cacheI14__hip_bfloat16S1_LNS_18Fp8KVCacheDataTypeE0EEEvPKT0_PT_PKiS9_iillllPKfS9_: ; @_ZN4vllm30gather_and_maybe_dequant_cacheI14__hip_bfloat16S1_LNS_18Fp8KVCacheDataTypeE0EEEvPKT0_PT_PKiS9_iillllPKfS9_
; %bb.0:
	s_load_dwordx4 s[16:19], s[4:5], 0x18
	s_load_dword s1, s[4:5], 0x5c
	s_mov_b32 s0, s7
	s_mov_b32 s7, 0
	s_add_u32 s20, s4, 0x58
	s_addc_u32 s21, s5, 0
	s_lshl_b64 s[8:9], s[6:7], 2
	s_waitcnt lgkmcnt(0)
	s_add_u32 s2, s16, s8
	s_addc_u32 s3, s17, s9
	s_abs_i32 s7, s18
	v_cvt_f32_u32_e32 v1, s7
	s_load_dwordx2 s[26:27], s[2:3], 0x0
	s_sub_i32 s10, 0, s7
	s_ashr_i32 s14, s18, 31
	v_rcp_iflag_f32_e32 v1, v1
	s_waitcnt lgkmcnt(0)
	s_sub_i32 s12, s27, s26
	s_add_i32 s2, s18, s12
	v_mul_f32_e32 v1, 0x4f7ffffe, v1
	v_cvt_u32_f32_e32 v1, v1
	s_add_i32 s2, s2, -1
	s_ashr_i32 s3, s2, 31
	s_abs_i32 s2, s2
	v_readfirstlane_b32 s13, v1
	s_mul_i32 s10, s10, s13
	s_mul_hi_u32 s10, s13, s10
	s_add_i32 s13, s13, s10
	s_mul_hi_u32 s10, s2, s13
	s_mul_i32 s11, s10, s7
	s_sub_i32 s2, s2, s11
	s_xor_b32 s3, s3, s14
	s_add_i32 s11, s10, 1
	s_sub_i32 s15, s2, s7
	s_cmp_ge_u32 s2, s7
	s_cselect_b32 s10, s11, s10
	s_cselect_b32 s2, s15, s2
	s_add_i32 s11, s10, 1
	s_cmp_ge_u32 s2, s7
	s_cselect_b32 s2, s11, s10
	s_abs_i32 s10, s1
	v_cvt_f32_u32_e32 v1, s10
	s_xor_b32 s2, s2, s3
	s_sub_i32 s15, s2, s3
	s_sub_i32 s3, 0, s10
	v_rcp_iflag_f32_e32 v1, v1
	s_add_i32 s2, s1, s15
	s_add_i32 s2, s2, -1
	s_xor_b32 s1, s2, s1
	v_mul_f32_e32 v1, 0x4f7ffffe, v1
	v_cvt_u32_f32_e32 v1, v1
	s_abs_i32 s2, s2
	s_ashr_i32 s1, s1, 31
	v_readfirstlane_b32 s11, v1
	s_mul_i32 s3, s3, s11
	s_mul_hi_u32 s3, s11, s3
	s_add_i32 s11, s11, s3
	s_mul_hi_u32 s3, s2, s11
	s_mul_i32 s11, s3, s10
	s_sub_i32 s2, s2, s11
	s_add_i32 s11, s3, 1
	s_sub_i32 s16, s2, s10
	s_cmp_ge_u32 s2, s10
	s_cselect_b32 s3, s11, s3
	s_cselect_b32 s2, s16, s2
	s_add_i32 s11, s3, 1
	s_cmp_ge_u32 s2, s10
	s_cselect_b32 s2, s11, s3
	s_xor_b32 s2, s2, s1
	s_sub_i32 s17, s2, s1
	s_mul_i32 s16, s17, s0
	s_cmp_ge_i32 s16, s15
	s_cbranch_scc1 .LBB42_21
; %bb.1:
	s_load_dwordx2 s[10:11], s[4:5], 0x50
	s_load_dwordx4 s[0:3], s[4:5], 0x8
	s_mov_b64 s[28:29], 0
	s_waitcnt lgkmcnt(0)
	s_cmp_eq_u64 s[10:11], 0
	s_cbranch_scc1 .LBB42_3
; %bb.2:
	s_add_u32 s8, s10, s8
	s_addc_u32 s9, s11, s9
	s_load_dword s8, s[8:9], 0x0
	s_waitcnt lgkmcnt(0)
	s_ashr_i32 s9, s8, 31
	s_abs_i32 s8, s8
	s_mul_hi_u32 s10, s8, s13
	s_mul_i32 s11, s10, s7
	s_sub_i32 s8, s8, s11
	s_xor_b32 s9, s9, s14
	s_add_i32 s14, s10, 1
	s_sub_i32 s11, s8, s7
	s_cmp_ge_u32 s8, s7
	s_cselect_b32 s10, s14, s10
	s_cselect_b32 s8, s11, s8
	s_add_i32 s11, s10, 1
	s_cmp_ge_u32 s8, s7
	s_cselect_b32 s8, s11, s10
	s_xor_b32 s8, s8, s9
	s_sub_i32 s28, s8, s9
	s_ashr_i32 s29, s28, 31
.LBB42_3:
	s_load_dwordx2 s[22:23], s[4:5], 0x0
	s_add_i32 s8, s16, s17
	s_min_i32 s24, s8, s15
	s_cmp_gt_i32 s15, s8
	s_mov_b32 s27, 0
	s_cbranch_scc1 .LBB42_5
; %bb.4:
	s_abs_i32 s9, s12
	s_mul_hi_u32 s10, s9, s13
	s_mul_i32 s10, s10, s7
	s_sub_i32 s9, s9, s10
	s_ashr_i32 s8, s12, 31
	s_sub_i32 s10, s9, s7
	s_cmp_ge_u32 s9, s7
	s_cselect_b32 s9, s10, s9
	s_sub_i32 s10, s9, s7
	s_cmp_ge_u32 s9, s7
	s_cselect_b32 s7, s10, s9
	s_xor_b32 s7, s7, s8
	s_sub_i32 s27, s7, s8
	s_cmp_lg_u32 s27, 0
	s_cselect_b64 s[8:9], -1, 0
	s_cmp_lg_u64 s[8:9], 0
	s_subb_u32 s24, s24, 0
.LBB42_5:
	s_load_dwordx8 s[8:15], s[4:5], 0x28
	s_waitcnt lgkmcnt(0)
	s_mul_i32 s4, s6, s8
	s_ashr_i32 s5, s4, 31
	s_lshl_b64 s[4:5], s[4:5], 2
	s_add_u32 s4, s2, s4
	s_addc_u32 s5, s3, s5
	s_lshl_b64 s[2:3], s[28:29], 2
	s_add_u32 s28, s4, s2
	s_mul_i32 s6, s26, s15
	s_mul_hi_u32 s7, s26, s14
	s_addc_u32 s29, s5, s3
	s_ashr_i32 s2, s26, 31
	s_add_i32 s3, s7, s6
	s_mul_i32 s2, s2, s14
	s_add_i32 s3, s3, s2
	s_mul_i32 s2, s26, s14
	s_lshl_b64 s[2:3], s[2:3], 1
	s_add_u32 s8, s0, s2
	s_addc_u32 s9, s1, s3
	s_cmp_ge_i32 s16, s24
	s_cbranch_scc1 .LBB42_14
; %bb.6:
	s_cmp_gt_i32 s18, 0
	s_cselect_b64 s[2:3], -1, 0
	v_cndmask_b32_e64 v1, 0, 1, s[2:3]
	v_cmp_gt_i32_e64 s[0:1], s19, v0
	v_cmp_ne_u32_e64 s[2:3], 1, v1
	s_branch .LBB42_8
.LBB42_7:                               ;   in Loop: Header=BB42_8 Depth=1
	s_add_i32 s16, s16, 1
	s_cmp_ge_i32 s16, s24
	s_cbranch_scc1 .LBB42_14
.LBB42_8:                               ; =>This Loop Header: Depth=1
                                        ;     Child Loop BB42_11 Depth 2
                                        ;       Child Loop BB42_13 Depth 3
	s_and_b64 vcc, exec, s[2:3]
	s_cbranch_vccnz .LBB42_7
; %bb.9:                                ;   in Loop: Header=BB42_8 Depth=1
	s_ashr_i32 s17, s16, 31
	s_lshl_b64 s[4:5], s[16:17], 2
	s_add_u32 s4, s28, s4
	s_addc_u32 s5, s29, s5
	s_load_dword s4, s[4:5], 0x0
	s_mov_b32 s31, 0
	s_waitcnt lgkmcnt(0)
	s_ashr_i32 s5, s4, 31
	s_mul_i32 s6, s4, s11
	s_mul_hi_u32 s7, s4, s10
	s_add_i32 s6, s7, s6
	s_mul_i32 s5, s5, s10
	s_mul_i32 s4, s4, s10
	s_add_i32 s5, s6, s5
	s_lshl_b64 s[4:5], s[4:5], 1
	s_add_u32 s17, s22, s4
	s_mul_i32 s4, s16, s18
	s_addc_u32 s25, s23, s5
	s_ashr_i32 s5, s4, 31
	s_mul_i32 s6, s4, s15
	s_mul_hi_u32 s7, s4, s14
	s_add_i32 s6, s7, s6
	s_mul_i32 s5, s5, s14
	s_add_i32 s5, s6, s5
	s_mul_i32 s4, s4, s14
	s_lshl_b64 s[4:5], s[4:5], 1
	s_add_u32 s26, s8, s4
	s_addc_u32 s30, s9, s5
	s_branch .LBB42_11
.LBB42_10:                              ;   in Loop: Header=BB42_11 Depth=2
	s_or_b64 exec, exec, s[4:5]
	s_add_i32 s31, s31, 1
	s_cmp_eq_u32 s31, s18
	s_cbranch_scc1 .LBB42_7
.LBB42_11:                              ;   Parent Loop BB42_8 Depth=1
                                        ; =>  This Loop Header: Depth=2
                                        ;       Child Loop BB42_13 Depth 3
	s_and_saveexec_b64 s[4:5], s[0:1]
	s_cbranch_execz .LBB42_10
; %bb.12:                               ;   in Loop: Header=BB42_11 Depth=2
	s_mul_i32 s6, s31, s13
	s_mul_hi_u32 s7, s31, s12
	s_add_i32 s7, s7, s6
	s_mul_i32 s6, s31, s12
	s_lshl_b64 s[6:7], s[6:7], 1
	s_add_u32 s33, s17, s6
	s_addc_u32 s36, s25, s7
	s_mul_i32 s6, s31, s15
	s_mul_hi_u32 s7, s31, s14
	s_load_dword s35, s[20:21], 0xc
	s_add_i32 s7, s7, s6
	s_mul_i32 s6, s31, s14
	s_lshl_b64 s[6:7], s[6:7], 1
	s_add_u32 s34, s26, s6
	s_addc_u32 s37, s30, s7
	s_waitcnt lgkmcnt(0)
	s_and_b32 s35, s35, 0xffff
	s_mov_b64 s[6:7], 0
	v_mov_b32_e32 v1, s36
	v_mov_b32_e32 v4, s37
	;; [unrolled: 1-line block ×3, first 2 shown]
.LBB42_13:                              ;   Parent Loop BB42_8 Depth=1
                                        ;     Parent Loop BB42_11 Depth=2
                                        ; =>    This Inner Loop Header: Depth=3
	v_ashrrev_i32_e32 v3, 31, v2
	v_lshlrev_b64 v[6:7], 1, v[2:3]
	v_add_co_u32_e32 v8, vcc, s33, v6
	v_addc_co_u32_e32 v9, vcc, v1, v7, vcc
	global_load_ushort v3, v[8:9], off
	v_add_co_u32_e32 v6, vcc, s34, v6
	v_addc_co_u32_e32 v7, vcc, v4, v7, vcc
	v_add_u32_e32 v2, s35, v2
	v_cmp_le_i32_e32 vcc, s19, v2
	s_or_b64 s[6:7], vcc, s[6:7]
	s_waitcnt vmcnt(0)
	global_store_short v[6:7], v3, off
	s_andn2_b64 exec, exec, s[6:7]
	s_cbranch_execnz .LBB42_13
	s_branch .LBB42_10
.LBB42_14:
	s_cmp_lg_u32 s27, 0
	s_cbranch_scc0 .LBB42_21
; %bb.15:
	s_cmp_lt_i32 s27, 1
	s_cbranch_scc1 .LBB42_21
; %bb.16:
	s_ashr_i32 s25, s24, 31
	s_lshl_b64 s[0:1], s[24:25], 2
	s_add_u32 s0, s28, s0
	s_addc_u32 s1, s29, s1
	s_load_dword s0, s[0:1], 0x0
	v_cmp_gt_i32_e32 vcc, s19, v0
	s_waitcnt lgkmcnt(0)
	s_ashr_i32 s1, s0, 31
	s_mul_i32 s2, s0, s11
	s_mul_hi_u32 s3, s0, s10
	s_add_i32 s2, s3, s2
	s_mul_i32 s1, s1, s10
	s_mul_i32 s0, s0, s10
	s_add_i32 s1, s2, s1
	s_lshl_b64 s[0:1], s[0:1], 1
	s_add_u32 s6, s22, s0
	s_mul_i32 s0, s24, s18
	s_addc_u32 s7, s23, s1
	s_ashr_i32 s1, s0, 31
	s_mul_i32 s2, s0, s15
	s_mul_hi_u32 s3, s0, s14
	s_add_i32 s2, s3, s2
	s_mul_i32 s1, s1, s14
	s_add_i32 s1, s2, s1
	s_mul_i32 s0, s0, s14
	s_lshl_b64 s[0:1], s[0:1], 1
	s_add_u32 s8, s8, s0
	s_addc_u32 s9, s9, s1
	s_mov_b32 s10, 0
	s_branch .LBB42_18
.LBB42_17:                              ;   in Loop: Header=BB42_18 Depth=1
	s_or_b64 exec, exec, s[2:3]
	s_add_i32 s10, s10, 1
	s_cmp_lg_u32 s10, s27
	s_cbranch_scc0 .LBB42_21
.LBB42_18:                              ; =>This Loop Header: Depth=1
                                        ;     Child Loop BB42_20 Depth 2
	s_and_saveexec_b64 s[2:3], vcc
	s_cbranch_execz .LBB42_17
; %bb.19:                               ;   in Loop: Header=BB42_18 Depth=1
	s_mul_i32 s0, s10, s13
	s_mul_hi_u32 s1, s10, s12
	s_add_i32 s1, s1, s0
	s_mul_i32 s0, s10, s12
	s_lshl_b64 s[0:1], s[0:1], 1
	s_add_u32 s11, s6, s0
	s_addc_u32 s18, s7, s1
	s_mul_i32 s0, s10, s15
	s_mul_hi_u32 s1, s10, s14
	s_load_dword s4, s[20:21], 0xc
	s_add_i32 s1, s1, s0
	s_mul_i32 s0, s10, s14
	s_lshl_b64 s[0:1], s[0:1], 1
	s_add_u32 s16, s8, s0
	s_addc_u32 s0, s9, s1
	s_waitcnt lgkmcnt(0)
	s_and_b32 s17, s4, 0xffff
	s_mov_b64 s[4:5], 0
	v_mov_b32_e32 v1, s18
	v_mov_b32_e32 v4, s0
	;; [unrolled: 1-line block ×3, first 2 shown]
.LBB42_20:                              ;   Parent Loop BB42_18 Depth=1
                                        ; =>  This Inner Loop Header: Depth=2
	v_ashrrev_i32_e32 v3, 31, v2
	v_lshlrev_b64 v[6:7], 1, v[2:3]
	v_add_co_u32_e64 v8, s[0:1], s11, v6
	v_addc_co_u32_e64 v9, s[0:1], v1, v7, s[0:1]
	global_load_ushort v3, v[8:9], off
	v_add_co_u32_e64 v6, s[0:1], s16, v6
	v_addc_co_u32_e64 v7, s[0:1], v4, v7, s[0:1]
	v_add_u32_e32 v2, s17, v2
	v_cmp_le_i32_e64 s[0:1], s19, v2
	s_or_b64 s[4:5], s[0:1], s[4:5]
	s_waitcnt vmcnt(0)
	global_store_short v[6:7], v3, off
	s_andn2_b64 exec, exec, s[4:5]
	s_cbranch_execnz .LBB42_20
	s_branch .LBB42_17
.LBB42_21:
	s_endpgm
	.section	.rodata,"a",@progbits
	.p2align	6, 0x0
	.amdhsa_kernel _ZN4vllm30gather_and_maybe_dequant_cacheI14__hip_bfloat16S1_LNS_18Fp8KVCacheDataTypeE0EEEvPKT0_PT_PKiS9_iillllPKfS9_
		.amdhsa_group_segment_fixed_size 0
		.amdhsa_private_segment_fixed_size 0
		.amdhsa_kernarg_size 344
		.amdhsa_user_sgpr_count 6
		.amdhsa_user_sgpr_private_segment_buffer 1
		.amdhsa_user_sgpr_dispatch_ptr 0
		.amdhsa_user_sgpr_queue_ptr 0
		.amdhsa_user_sgpr_kernarg_segment_ptr 1
		.amdhsa_user_sgpr_dispatch_id 0
		.amdhsa_user_sgpr_flat_scratch_init 0
		.amdhsa_user_sgpr_kernarg_preload_length 0
		.amdhsa_user_sgpr_kernarg_preload_offset 0
		.amdhsa_user_sgpr_private_segment_size 0
		.amdhsa_uses_dynamic_stack 0
		.amdhsa_system_sgpr_private_segment_wavefront_offset 0
		.amdhsa_system_sgpr_workgroup_id_x 1
		.amdhsa_system_sgpr_workgroup_id_y 1
		.amdhsa_system_sgpr_workgroup_id_z 0
		.amdhsa_system_sgpr_workgroup_info 0
		.amdhsa_system_vgpr_workitem_id 0
		.amdhsa_next_free_vgpr 10
		.amdhsa_next_free_sgpr 38
		.amdhsa_accum_offset 12
		.amdhsa_reserve_vcc 1
		.amdhsa_reserve_flat_scratch 0
		.amdhsa_float_round_mode_32 0
		.amdhsa_float_round_mode_16_64 0
		.amdhsa_float_denorm_mode_32 3
		.amdhsa_float_denorm_mode_16_64 3
		.amdhsa_dx10_clamp 1
		.amdhsa_ieee_mode 1
		.amdhsa_fp16_overflow 0
		.amdhsa_tg_split 0
		.amdhsa_exception_fp_ieee_invalid_op 0
		.amdhsa_exception_fp_denorm_src 0
		.amdhsa_exception_fp_ieee_div_zero 0
		.amdhsa_exception_fp_ieee_overflow 0
		.amdhsa_exception_fp_ieee_underflow 0
		.amdhsa_exception_fp_ieee_inexact 0
		.amdhsa_exception_int_div_zero 0
	.end_amdhsa_kernel
	.section	.text._ZN4vllm30gather_and_maybe_dequant_cacheI14__hip_bfloat16S1_LNS_18Fp8KVCacheDataTypeE0EEEvPKT0_PT_PKiS9_iillllPKfS9_,"axG",@progbits,_ZN4vllm30gather_and_maybe_dequant_cacheI14__hip_bfloat16S1_LNS_18Fp8KVCacheDataTypeE0EEEvPKT0_PT_PKiS9_iillllPKfS9_,comdat
.Lfunc_end42:
	.size	_ZN4vllm30gather_and_maybe_dequant_cacheI14__hip_bfloat16S1_LNS_18Fp8KVCacheDataTypeE0EEEvPKT0_PT_PKiS9_iillllPKfS9_, .Lfunc_end42-_ZN4vllm30gather_and_maybe_dequant_cacheI14__hip_bfloat16S1_LNS_18Fp8KVCacheDataTypeE0EEEvPKT0_PT_PKiS9_iillllPKfS9_
                                        ; -- End function
	.section	.AMDGPU.csdata,"",@progbits
; Kernel info:
; codeLenInByte = 1340
; NumSgprs: 42
; NumVgprs: 10
; NumAgprs: 0
; TotalNumVgprs: 10
; ScratchSize: 0
; MemoryBound: 0
; FloatMode: 240
; IeeeMode: 1
; LDSByteSize: 0 bytes/workgroup (compile time only)
; SGPRBlocks: 5
; VGPRBlocks: 1
; NumSGPRsForWavesPerEU: 42
; NumVGPRsForWavesPerEU: 10
; AccumOffset: 12
; Occupancy: 8
; WaveLimiterHint : 1
; COMPUTE_PGM_RSRC2:SCRATCH_EN: 0
; COMPUTE_PGM_RSRC2:USER_SGPR: 6
; COMPUTE_PGM_RSRC2:TRAP_HANDLER: 0
; COMPUTE_PGM_RSRC2:TGID_X_EN: 1
; COMPUTE_PGM_RSRC2:TGID_Y_EN: 1
; COMPUTE_PGM_RSRC2:TGID_Z_EN: 0
; COMPUTE_PGM_RSRC2:TIDIG_COMP_CNT: 0
; COMPUTE_PGM_RSRC3_GFX90A:ACCUM_OFFSET: 2
; COMPUTE_PGM_RSRC3_GFX90A:TG_SPLIT: 0
	.section	.text._ZN4vllm30gather_and_maybe_dequant_cacheIfhLNS_18Fp8KVCacheDataTypeE1EEEvPKT0_PT_PKiS8_iillllPKfS8_,"axG",@progbits,_ZN4vllm30gather_and_maybe_dequant_cacheIfhLNS_18Fp8KVCacheDataTypeE1EEEvPKT0_PT_PKiS8_iillllPKfS8_,comdat
	.protected	_ZN4vllm30gather_and_maybe_dequant_cacheIfhLNS_18Fp8KVCacheDataTypeE1EEEvPKT0_PT_PKiS8_iillllPKfS8_ ; -- Begin function _ZN4vllm30gather_and_maybe_dequant_cacheIfhLNS_18Fp8KVCacheDataTypeE1EEEvPKT0_PT_PKiS8_iillllPKfS8_
	.globl	_ZN4vllm30gather_and_maybe_dequant_cacheIfhLNS_18Fp8KVCacheDataTypeE1EEEvPKT0_PT_PKiS8_iillllPKfS8_
	.p2align	8
	.type	_ZN4vllm30gather_and_maybe_dequant_cacheIfhLNS_18Fp8KVCacheDataTypeE1EEEvPKT0_PT_PKiS8_iillllPKfS8_,@function
_ZN4vllm30gather_and_maybe_dequant_cacheIfhLNS_18Fp8KVCacheDataTypeE1EEEvPKT0_PT_PKiS8_iillllPKfS8_: ; @_ZN4vllm30gather_and_maybe_dequant_cacheIfhLNS_18Fp8KVCacheDataTypeE1EEEvPKT0_PT_PKiS8_iillllPKfS8_
; %bb.0:
	s_load_dwordx4 s[16:19], s[4:5], 0x18
	s_load_dword s1, s[4:5], 0x5c
	s_mov_b32 s0, s7
	s_mov_b32 s7, 0
	s_add_u32 s20, s4, 0x58
	s_addc_u32 s21, s5, 0
	s_lshl_b64 s[8:9], s[6:7], 2
	s_waitcnt lgkmcnt(0)
	s_add_u32 s2, s16, s8
	s_addc_u32 s3, s17, s9
	s_abs_i32 s7, s18
	v_cvt_f32_u32_e32 v1, s7
	s_load_dwordx2 s[28:29], s[2:3], 0x0
	s_sub_i32 s10, 0, s7
	s_ashr_i32 s14, s18, 31
	v_rcp_iflag_f32_e32 v1, v1
	s_waitcnt lgkmcnt(0)
	s_sub_i32 s12, s29, s28
	s_add_i32 s2, s18, s12
	v_mul_f32_e32 v1, 0x4f7ffffe, v1
	v_cvt_u32_f32_e32 v1, v1
	s_add_i32 s2, s2, -1
	s_ashr_i32 s3, s2, 31
	s_abs_i32 s2, s2
	v_readfirstlane_b32 s13, v1
	s_mul_i32 s10, s10, s13
	s_mul_hi_u32 s10, s13, s10
	s_add_i32 s13, s13, s10
	s_mul_hi_u32 s10, s2, s13
	s_mul_i32 s11, s10, s7
	s_sub_i32 s2, s2, s11
	s_xor_b32 s3, s3, s14
	s_add_i32 s11, s10, 1
	s_sub_i32 s15, s2, s7
	s_cmp_ge_u32 s2, s7
	s_cselect_b32 s10, s11, s10
	s_cselect_b32 s2, s15, s2
	s_add_i32 s11, s10, 1
	s_cmp_ge_u32 s2, s7
	s_cselect_b32 s2, s11, s10
	s_abs_i32 s10, s1
	v_cvt_f32_u32_e32 v1, s10
	s_xor_b32 s2, s2, s3
	s_sub_i32 s15, s2, s3
	s_sub_i32 s3, 0, s10
	v_rcp_iflag_f32_e32 v1, v1
	s_add_i32 s2, s1, s15
	s_add_i32 s2, s2, -1
	s_xor_b32 s1, s2, s1
	v_mul_f32_e32 v1, 0x4f7ffffe, v1
	v_cvt_u32_f32_e32 v1, v1
	s_abs_i32 s2, s2
	s_ashr_i32 s1, s1, 31
	v_readfirstlane_b32 s11, v1
	s_mul_i32 s3, s3, s11
	s_mul_hi_u32 s3, s11, s3
	s_add_i32 s11, s11, s3
	s_mul_hi_u32 s3, s2, s11
	s_mul_i32 s11, s3, s10
	s_sub_i32 s2, s2, s11
	s_add_i32 s11, s3, 1
	s_sub_i32 s16, s2, s10
	s_cmp_ge_u32 s2, s10
	s_cselect_b32 s3, s11, s3
	s_cselect_b32 s2, s16, s2
	s_add_i32 s11, s3, 1
	s_cmp_ge_u32 s2, s10
	s_cselect_b32 s2, s11, s3
	s_xor_b32 s2, s2, s1
	s_sub_i32 s23, s2, s1
	s_mul_i32 s22, s23, s0
	s_cmp_ge_i32 s22, s15
	s_cbranch_scc1 .LBB43_33
; %bb.1:
	s_load_dwordx2 s[10:11], s[4:5], 0x50
	s_load_dwordx4 s[0:3], s[4:5], 0x8
	s_mov_b64 s[30:31], 0
	s_waitcnt lgkmcnt(0)
	s_cmp_eq_u64 s[10:11], 0
	s_cbranch_scc1 .LBB43_3
; %bb.2:
	s_add_u32 s8, s10, s8
	s_addc_u32 s9, s11, s9
	s_load_dword s8, s[8:9], 0x0
	s_waitcnt lgkmcnt(0)
	s_ashr_i32 s9, s8, 31
	s_abs_i32 s8, s8
	s_mul_hi_u32 s10, s8, s13
	s_mul_i32 s11, s10, s7
	s_sub_i32 s8, s8, s11
	s_xor_b32 s9, s9, s14
	s_add_i32 s14, s10, 1
	s_sub_i32 s11, s8, s7
	s_cmp_ge_u32 s8, s7
	s_cselect_b32 s10, s14, s10
	s_cselect_b32 s8, s11, s8
	s_add_i32 s11, s10, 1
	s_cmp_ge_u32 s8, s7
	s_cselect_b32 s8, s11, s10
	s_xor_b32 s8, s8, s9
	s_sub_i32 s30, s8, s9
	s_ashr_i32 s31, s30, 31
.LBB43_3:
	s_load_dwordx2 s[16:17], s[4:5], 0x48
	s_load_dwordx2 s[24:25], s[4:5], 0x0
	s_add_i32 s8, s22, s23
	s_min_i32 s26, s8, s15
	s_cmp_gt_i32 s15, s8
	s_mov_b32 s33, 0
	s_cbranch_scc1 .LBB43_5
; %bb.4:
	s_abs_i32 s9, s12
	s_mul_hi_u32 s10, s9, s13
	s_mul_i32 s10, s10, s7
	s_sub_i32 s9, s9, s10
	s_ashr_i32 s8, s12, 31
	s_sub_i32 s10, s9, s7
	s_cmp_ge_u32 s9, s7
	s_cselect_b32 s9, s10, s9
	s_sub_i32 s10, s9, s7
	s_cmp_ge_u32 s9, s7
	s_cselect_b32 s7, s10, s9
	s_xor_b32 s7, s7, s8
	s_sub_i32 s33, s7, s8
	s_cmp_lg_u32 s33, 0
	s_cselect_b64 s[8:9], -1, 0
	s_cmp_lg_u64 s[8:9], 0
	s_subb_u32 s26, s26, 0
.LBB43_5:
	s_load_dwordx8 s[8:15], s[4:5], 0x28
	s_waitcnt lgkmcnt(0)
	s_mul_i32 s4, s6, s8
	s_ashr_i32 s5, s4, 31
	s_lshl_b64 s[4:5], s[4:5], 2
	s_add_u32 s4, s2, s4
	s_addc_u32 s5, s3, s5
	s_lshl_b64 s[2:3], s[30:31], 2
	s_add_u32 s36, s4, s2
	s_mul_i32 s6, s28, s15
	s_mul_hi_u32 s7, s28, s14
	s_addc_u32 s37, s5, s3
	s_ashr_i32 s2, s28, 31
	s_add_i32 s3, s7, s6
	s_mul_i32 s2, s2, s14
	s_add_i32 s3, s3, s2
	s_mul_i32 s2, s28, s14
	s_lshl_b64 s[2:3], s[2:3], 2
	s_add_u32 s34, s0, s2
	s_addc_u32 s35, s1, s3
	s_cmp_ge_i32 s22, s26
	s_cbranch_scc1 .LBB43_20
; %bb.6:
	s_cmp_gt_i32 s18, 0
	s_cselect_b64 s[2:3], -1, 0
	v_cndmask_b32_e64 v1, 0, 1, s[2:3]
	v_cmp_gt_i32_e64 s[0:1], s19, v0
	v_cmp_ne_u32_e64 s[2:3], 1, v1
	s_movk_i32 s27, 0x80
	s_movk_i32 s38, 0x7f
	v_bfrev_b32_e32 v1, 60
	s_branch .LBB43_8
.LBB43_7:                               ;   in Loop: Header=BB43_8 Depth=1
	s_add_i32 s22, s22, 1
	s_cmp_ge_i32 s22, s26
	s_cbranch_scc1 .LBB43_20
.LBB43_8:                               ; =>This Loop Header: Depth=1
                                        ;     Child Loop BB43_11 Depth 2
                                        ;       Child Loop BB43_16 Depth 3
	s_and_b64 vcc, exec, s[2:3]
	s_cbranch_vccnz .LBB43_7
; %bb.9:                                ;   in Loop: Header=BB43_8 Depth=1
	s_ashr_i32 s23, s22, 31
	s_lshl_b64 s[4:5], s[22:23], 2
	s_add_u32 s4, s36, s4
	s_addc_u32 s5, s37, s5
	s_load_dword s4, s[4:5], 0x0
	s_mov_b32 s42, 0
	s_waitcnt lgkmcnt(0)
	s_ashr_i32 s5, s4, 31
	s_mul_i32 s6, s4, s11
	s_mul_hi_u32 s7, s4, s10
	s_add_i32 s6, s7, s6
	s_mul_i32 s5, s5, s10
	s_mul_i32 s4, s4, s10
	s_add_i32 s6, s6, s5
	s_add_u32 s23, s24, s4
	s_mul_i32 s4, s22, s18
	s_addc_u32 s39, s25, s6
	s_ashr_i32 s5, s4, 31
	s_mul_i32 s6, s4, s15
	s_mul_hi_u32 s7, s4, s14
	s_add_i32 s6, s7, s6
	s_mul_i32 s5, s5, s14
	s_add_i32 s5, s6, s5
	s_mul_i32 s4, s4, s14
	s_lshl_b64 s[4:5], s[4:5], 2
	s_add_u32 s40, s34, s4
	s_addc_u32 s41, s35, s5
	s_branch .LBB43_11
.LBB43_10:                              ;   in Loop: Header=BB43_11 Depth=2
	s_or_b64 exec, exec, s[4:5]
	s_add_i32 s42, s42, 1
	s_cmp_eq_u32 s42, s18
	s_cbranch_scc1 .LBB43_7
.LBB43_11:                              ;   Parent Loop BB43_8 Depth=1
                                        ; =>  This Loop Header: Depth=2
                                        ;       Child Loop BB43_16 Depth 3
	s_and_saveexec_b64 s[4:5], s[0:1]
	s_cbranch_execz .LBB43_10
; %bb.12:                               ;   in Loop: Header=BB43_11 Depth=2
	s_mul_i32 s6, s42, s13
	s_mul_hi_u32 s7, s42, s12
	s_add_i32 s7, s7, s6
	s_mul_i32 s6, s42, s12
	s_add_u32 s43, s23, s6
	s_addc_u32 s8, s39, s7
	s_mul_i32 s6, s42, s15
	s_mul_hi_u32 s7, s42, s14
	s_load_dword s9, s[20:21], 0xc
	s_add_i32 s7, s7, s6
	s_mul_i32 s6, s42, s14
	s_load_dword s45, s[16:17], 0x0
	s_lshl_b64 s[6:7], s[6:7], 2
	s_add_u32 s44, s40, s6
	s_addc_u32 s28, s41, s7
	s_waitcnt lgkmcnt(0)
	s_and_b32 s46, s9, 0xffff
	s_mov_b64 s[6:7], 0
	v_mov_b32_e32 v5, s8
	v_mov_b32_e32 v6, s28
	;; [unrolled: 1-line block ×3, first 2 shown]
	s_branch .LBB43_16
.LBB43_13:                              ;   in Loop: Header=BB43_16 Depth=3
	s_or_b64 exec, exec, s[30:31]
.LBB43_14:                              ;   in Loop: Header=BB43_16 Depth=3
	s_or_b64 exec, exec, s[28:29]
.LBB43_15:                              ;   in Loop: Header=BB43_16 Depth=3
	s_or_b64 exec, exec, s[8:9]
	v_mul_f32_e32 v4, s45, v8
	v_lshlrev_b64 v[8:9], 2, v[2:3]
	v_add_co_u32_e32 v8, vcc, s44, v8
	v_addc_co_u32_e32 v9, vcc, v6, v9, vcc
	v_add_u32_e32 v2, s46, v2
	v_cmp_le_i32_e32 vcc, s19, v2
	s_or_b64 s[6:7], vcc, s[6:7]
	global_store_dword v[8:9], v4, off
	s_andn2_b64 exec, exec, s[6:7]
	s_cbranch_execz .LBB43_10
.LBB43_16:                              ;   Parent Loop BB43_8 Depth=1
                                        ;     Parent Loop BB43_11 Depth=2
                                        ; =>    This Inner Loop Header: Depth=3
	v_ashrrev_i32_e32 v3, 31, v2
	v_add_co_u32_e32 v8, vcc, s43, v2
	v_addc_co_u32_e32 v9, vcc, v5, v3, vcc
	global_load_ubyte v7, v[8:9], off
	v_mov_b32_e32 v8, 0
	s_waitcnt vmcnt(0)
	v_cmp_ne_u16_e32 vcc, 0, v7
	s_and_saveexec_b64 s[8:9], vcc
	s_cbranch_execz .LBB43_15
; %bb.17:                               ;   in Loop: Header=BB43_16 Depth=3
	v_cmp_ne_u16_e32 vcc, s27, v7
	v_bfrev_b32_e32 v8, 1
	s_and_saveexec_b64 s[28:29], vcc
	s_cbranch_execz .LBB43_14
; %bb.18:                               ;   in Loop: Header=BB43_16 Depth=3
	v_and_b32_e32 v4, 0xffff, v7
	v_and_b32_e32 v9, 0x7f, v4
	v_cmp_ne_u32_e32 vcc, s38, v9
	v_mov_b32_e32 v8, 0x7f800001
	s_and_saveexec_b64 s[30:31], vcc
	s_cbranch_execz .LBB43_13
; %bb.19:                               ;   in Loop: Header=BB43_16 Depth=3
	v_and_b32_e32 v8, 7, v4
	v_ffbh_u32_e32 v10, v8
	v_min_u32_e32 v13, 32, v10
	v_subrev_u32_e32 v10, 28, v13
	v_lshlrev_b64 v[10:11], v10, v[4:5]
	v_lshrrev_b32_e32 v12, 3, v9
	v_sub_u32_e32 v4, 29, v13
	v_and_b32_e32 v10, 7, v10
	v_cmp_gt_u32_e32 vcc, 8, v9
	v_cndmask_b32_e32 v4, v12, v4, vcc
	v_cndmask_b32_e32 v8, v8, v10, vcc
	v_lshlrev_b32_e32 v7, 24, v7
	v_lshlrev_b32_e32 v8, 20, v8
	v_and_b32_e32 v7, 0x80000000, v7
	v_lshl_add_u32 v4, v4, 23, v1
	v_or3_b32 v8, v7, v4, v8
	s_branch .LBB43_13
.LBB43_20:
	s_cmp_lg_u32 s33, 0
	s_cbranch_scc0 .LBB43_33
; %bb.21:
	s_cmp_lt_i32 s33, 1
	s_cbranch_scc1 .LBB43_33
; %bb.22:
	s_ashr_i32 s27, s26, 31
	s_lshl_b64 s[0:1], s[26:27], 2
	s_add_u32 s0, s36, s0
	s_addc_u32 s1, s37, s1
	s_load_dword s0, s[0:1], 0x0
	v_cmp_gt_i32_e32 vcc, s19, v0
	s_movk_i32 s27, 0x7f
	v_bfrev_b32_e32 v1, 60
	s_waitcnt lgkmcnt(0)
	s_ashr_i32 s1, s0, 31
	s_mul_i32 s2, s0, s11
	s_mul_hi_u32 s3, s0, s10
	s_add_i32 s2, s3, s2
	s_mul_i32 s1, s1, s10
	s_mul_i32 s0, s0, s10
	s_add_i32 s2, s2, s1
	s_add_u32 s22, s24, s0
	s_mul_i32 s0, s26, s18
	s_addc_u32 s23, s25, s2
	s_ashr_i32 s1, s0, 31
	s_mul_i32 s2, s0, s15
	s_mul_hi_u32 s3, s0, s14
	s_add_i32 s2, s3, s2
	s_mul_i32 s1, s1, s14
	s_add_i32 s1, s2, s1
	s_mul_i32 s0, s0, s14
	s_lshl_b64 s[0:1], s[0:1], 2
	s_add_u32 s18, s34, s0
	s_addc_u32 s24, s35, s1
	s_mov_b32 s25, 0
	s_movk_i32 s26, 0x80
	s_branch .LBB43_24
.LBB43_23:                              ;   in Loop: Header=BB43_24 Depth=1
	s_or_b64 exec, exec, s[2:3]
	s_add_i32 s25, s25, 1
	s_cmp_lg_u32 s25, s33
	s_cbranch_scc0 .LBB43_33
.LBB43_24:                              ; =>This Loop Header: Depth=1
                                        ;     Child Loop BB43_29 Depth 2
	s_and_saveexec_b64 s[2:3], vcc
	s_cbranch_execz .LBB43_23
; %bb.25:                               ;   in Loop: Header=BB43_24 Depth=1
	s_mul_i32 s0, s25, s13
	s_mul_hi_u32 s1, s25, s12
	s_add_i32 s1, s1, s0
	s_mul_i32 s0, s25, s12
	s_add_u32 s28, s22, s0
	s_addc_u32 s6, s23, s1
	s_mul_i32 s0, s25, s15
	s_mul_hi_u32 s1, s25, s14
	s_load_dword s4, s[20:21], 0xc
	s_add_i32 s1, s1, s0
	s_mul_i32 s0, s25, s14
	s_load_dword s30, s[16:17], 0x0
	s_lshl_b64 s[0:1], s[0:1], 2
	s_add_u32 s29, s18, s0
	s_addc_u32 s0, s24, s1
	s_waitcnt lgkmcnt(0)
	s_and_b32 s31, s4, 0xffff
	s_mov_b64 s[4:5], 0
	v_mov_b32_e32 v5, s6
	v_mov_b32_e32 v6, s0
	;; [unrolled: 1-line block ×3, first 2 shown]
	s_branch .LBB43_29
.LBB43_26:                              ;   in Loop: Header=BB43_29 Depth=2
	s_or_b64 exec, exec, s[10:11]
.LBB43_27:                              ;   in Loop: Header=BB43_29 Depth=2
	s_or_b64 exec, exec, s[8:9]
.LBB43_28:                              ;   in Loop: Header=BB43_29 Depth=2
	s_or_b64 exec, exec, s[6:7]
	v_mul_f32_e32 v4, s30, v8
	v_lshlrev_b64 v[8:9], 2, v[2:3]
	v_add_co_u32_e64 v8, s[0:1], s29, v8
	v_addc_co_u32_e64 v9, s[0:1], v6, v9, s[0:1]
	v_add_u32_e32 v2, s31, v2
	v_cmp_le_i32_e64 s[0:1], s19, v2
	s_or_b64 s[4:5], s[0:1], s[4:5]
	global_store_dword v[8:9], v4, off
	s_andn2_b64 exec, exec, s[4:5]
	s_cbranch_execz .LBB43_23
.LBB43_29:                              ;   Parent Loop BB43_24 Depth=1
                                        ; =>  This Inner Loop Header: Depth=2
	v_ashrrev_i32_e32 v3, 31, v2
	v_add_co_u32_e64 v8, s[0:1], s28, v2
	v_addc_co_u32_e64 v9, s[0:1], v5, v3, s[0:1]
	global_load_ubyte v7, v[8:9], off
	v_mov_b32_e32 v8, 0
	s_waitcnt vmcnt(0)
	v_cmp_ne_u16_e64 s[0:1], 0, v7
	s_and_saveexec_b64 s[6:7], s[0:1]
	s_cbranch_execz .LBB43_28
; %bb.30:                               ;   in Loop: Header=BB43_29 Depth=2
	v_cmp_ne_u16_e64 s[0:1], s26, v7
	v_bfrev_b32_e32 v8, 1
	s_and_saveexec_b64 s[8:9], s[0:1]
	s_cbranch_execz .LBB43_27
; %bb.31:                               ;   in Loop: Header=BB43_29 Depth=2
	v_and_b32_e32 v4, 0xffff, v7
	v_and_b32_e32 v9, 0x7f, v4
	v_cmp_ne_u32_e64 s[0:1], s27, v9
	v_mov_b32_e32 v8, 0x7f800001
	s_and_saveexec_b64 s[10:11], s[0:1]
	s_cbranch_execz .LBB43_26
; %bb.32:                               ;   in Loop: Header=BB43_29 Depth=2
	v_and_b32_e32 v8, 7, v4
	v_ffbh_u32_e32 v10, v8
	v_min_u32_e32 v13, 32, v10
	v_subrev_u32_e32 v10, 28, v13
	v_lshlrev_b64 v[10:11], v10, v[4:5]
	v_lshrrev_b32_e32 v12, 3, v9
	v_sub_u32_e32 v4, 29, v13
	v_and_b32_e32 v10, 7, v10
	v_cmp_gt_u32_e64 s[0:1], 8, v9
	v_cndmask_b32_e64 v4, v12, v4, s[0:1]
	v_cndmask_b32_e64 v8, v8, v10, s[0:1]
	v_lshlrev_b32_e32 v7, 24, v7
	v_lshlrev_b32_e32 v8, 20, v8
	v_and_b32_e32 v7, 0x80000000, v7
	v_lshl_add_u32 v4, v4, 23, v1
	v_or3_b32 v8, v7, v4, v8
	s_branch .LBB43_26
.LBB43_33:
	s_endpgm
	.section	.rodata,"a",@progbits
	.p2align	6, 0x0
	.amdhsa_kernel _ZN4vllm30gather_and_maybe_dequant_cacheIfhLNS_18Fp8KVCacheDataTypeE1EEEvPKT0_PT_PKiS8_iillllPKfS8_
		.amdhsa_group_segment_fixed_size 0
		.amdhsa_private_segment_fixed_size 0
		.amdhsa_kernarg_size 344
		.amdhsa_user_sgpr_count 6
		.amdhsa_user_sgpr_private_segment_buffer 1
		.amdhsa_user_sgpr_dispatch_ptr 0
		.amdhsa_user_sgpr_queue_ptr 0
		.amdhsa_user_sgpr_kernarg_segment_ptr 1
		.amdhsa_user_sgpr_dispatch_id 0
		.amdhsa_user_sgpr_flat_scratch_init 0
		.amdhsa_user_sgpr_kernarg_preload_length 0
		.amdhsa_user_sgpr_kernarg_preload_offset 0
		.amdhsa_user_sgpr_private_segment_size 0
		.amdhsa_uses_dynamic_stack 0
		.amdhsa_system_sgpr_private_segment_wavefront_offset 0
		.amdhsa_system_sgpr_workgroup_id_x 1
		.amdhsa_system_sgpr_workgroup_id_y 1
		.amdhsa_system_sgpr_workgroup_id_z 0
		.amdhsa_system_sgpr_workgroup_info 0
		.amdhsa_system_vgpr_workitem_id 0
		.amdhsa_next_free_vgpr 14
		.amdhsa_next_free_sgpr 47
		.amdhsa_accum_offset 16
		.amdhsa_reserve_vcc 1
		.amdhsa_reserve_flat_scratch 0
		.amdhsa_float_round_mode_32 0
		.amdhsa_float_round_mode_16_64 0
		.amdhsa_float_denorm_mode_32 3
		.amdhsa_float_denorm_mode_16_64 3
		.amdhsa_dx10_clamp 1
		.amdhsa_ieee_mode 1
		.amdhsa_fp16_overflow 0
		.amdhsa_tg_split 0
		.amdhsa_exception_fp_ieee_invalid_op 0
		.amdhsa_exception_fp_denorm_src 0
		.amdhsa_exception_fp_ieee_div_zero 0
		.amdhsa_exception_fp_ieee_overflow 0
		.amdhsa_exception_fp_ieee_underflow 0
		.amdhsa_exception_fp_ieee_inexact 0
		.amdhsa_exception_int_div_zero 0
	.end_amdhsa_kernel
	.section	.text._ZN4vllm30gather_and_maybe_dequant_cacheIfhLNS_18Fp8KVCacheDataTypeE1EEEvPKT0_PT_PKiS8_iillllPKfS8_,"axG",@progbits,_ZN4vllm30gather_and_maybe_dequant_cacheIfhLNS_18Fp8KVCacheDataTypeE1EEEvPKT0_PT_PKiS8_iillllPKfS8_,comdat
.Lfunc_end43:
	.size	_ZN4vllm30gather_and_maybe_dequant_cacheIfhLNS_18Fp8KVCacheDataTypeE1EEEvPKT0_PT_PKiS8_iillllPKfS8_, .Lfunc_end43-_ZN4vllm30gather_and_maybe_dequant_cacheIfhLNS_18Fp8KVCacheDataTypeE1EEEvPKT0_PT_PKiS8_iillllPKfS8_
                                        ; -- End function
	.section	.AMDGPU.csdata,"",@progbits
; Kernel info:
; codeLenInByte = 1732
; NumSgprs: 51
; NumVgprs: 14
; NumAgprs: 0
; TotalNumVgprs: 14
; ScratchSize: 0
; MemoryBound: 0
; FloatMode: 240
; IeeeMode: 1
; LDSByteSize: 0 bytes/workgroup (compile time only)
; SGPRBlocks: 6
; VGPRBlocks: 1
; NumSGPRsForWavesPerEU: 51
; NumVGPRsForWavesPerEU: 14
; AccumOffset: 16
; Occupancy: 8
; WaveLimiterHint : 1
; COMPUTE_PGM_RSRC2:SCRATCH_EN: 0
; COMPUTE_PGM_RSRC2:USER_SGPR: 6
; COMPUTE_PGM_RSRC2:TRAP_HANDLER: 0
; COMPUTE_PGM_RSRC2:TGID_X_EN: 1
; COMPUTE_PGM_RSRC2:TGID_Y_EN: 1
; COMPUTE_PGM_RSRC2:TGID_Z_EN: 0
; COMPUTE_PGM_RSRC2:TIDIG_COMP_CNT: 0
; COMPUTE_PGM_RSRC3_GFX90A:ACCUM_OFFSET: 3
; COMPUTE_PGM_RSRC3_GFX90A:TG_SPLIT: 0
	.section	.text._ZN4vllm30gather_and_maybe_dequant_cacheIthLNS_18Fp8KVCacheDataTypeE1EEEvPKT0_PT_PKiS8_iillllPKfS8_,"axG",@progbits,_ZN4vllm30gather_and_maybe_dequant_cacheIthLNS_18Fp8KVCacheDataTypeE1EEEvPKT0_PT_PKiS8_iillllPKfS8_,comdat
	.protected	_ZN4vllm30gather_and_maybe_dequant_cacheIthLNS_18Fp8KVCacheDataTypeE1EEEvPKT0_PT_PKiS8_iillllPKfS8_ ; -- Begin function _ZN4vllm30gather_and_maybe_dequant_cacheIthLNS_18Fp8KVCacheDataTypeE1EEEvPKT0_PT_PKiS8_iillllPKfS8_
	.globl	_ZN4vllm30gather_and_maybe_dequant_cacheIthLNS_18Fp8KVCacheDataTypeE1EEEvPKT0_PT_PKiS8_iillllPKfS8_
	.p2align	8
	.type	_ZN4vllm30gather_and_maybe_dequant_cacheIthLNS_18Fp8KVCacheDataTypeE1EEEvPKT0_PT_PKiS8_iillllPKfS8_,@function
_ZN4vllm30gather_and_maybe_dequant_cacheIthLNS_18Fp8KVCacheDataTypeE1EEEvPKT0_PT_PKiS8_iillllPKfS8_: ; @_ZN4vllm30gather_and_maybe_dequant_cacheIthLNS_18Fp8KVCacheDataTypeE1EEEvPKT0_PT_PKiS8_iillllPKfS8_
; %bb.0:
	s_load_dwordx4 s[16:19], s[4:5], 0x18
	s_load_dword s1, s[4:5], 0x5c
	s_mov_b32 s0, s7
	s_mov_b32 s7, 0
	s_add_u32 s20, s4, 0x58
	s_addc_u32 s21, s5, 0
	s_lshl_b64 s[8:9], s[6:7], 2
	s_waitcnt lgkmcnt(0)
	s_add_u32 s2, s16, s8
	s_addc_u32 s3, s17, s9
	s_abs_i32 s7, s18
	v_cvt_f32_u32_e32 v1, s7
	s_load_dwordx2 s[28:29], s[2:3], 0x0
	s_sub_i32 s10, 0, s7
	s_ashr_i32 s14, s18, 31
	v_rcp_iflag_f32_e32 v1, v1
	s_waitcnt lgkmcnt(0)
	s_sub_i32 s12, s29, s28
	s_add_i32 s2, s18, s12
	v_mul_f32_e32 v1, 0x4f7ffffe, v1
	v_cvt_u32_f32_e32 v1, v1
	s_add_i32 s2, s2, -1
	s_ashr_i32 s3, s2, 31
	s_abs_i32 s2, s2
	v_readfirstlane_b32 s13, v1
	s_mul_i32 s10, s10, s13
	s_mul_hi_u32 s10, s13, s10
	s_add_i32 s13, s13, s10
	s_mul_hi_u32 s10, s2, s13
	s_mul_i32 s11, s10, s7
	s_sub_i32 s2, s2, s11
	s_xor_b32 s3, s3, s14
	s_add_i32 s11, s10, 1
	s_sub_i32 s15, s2, s7
	s_cmp_ge_u32 s2, s7
	s_cselect_b32 s10, s11, s10
	s_cselect_b32 s2, s15, s2
	s_add_i32 s11, s10, 1
	s_cmp_ge_u32 s2, s7
	s_cselect_b32 s2, s11, s10
	s_abs_i32 s10, s1
	v_cvt_f32_u32_e32 v1, s10
	s_xor_b32 s2, s2, s3
	s_sub_i32 s15, s2, s3
	s_sub_i32 s3, 0, s10
	v_rcp_iflag_f32_e32 v1, v1
	s_add_i32 s2, s1, s15
	s_add_i32 s2, s2, -1
	s_xor_b32 s1, s2, s1
	v_mul_f32_e32 v1, 0x4f7ffffe, v1
	v_cvt_u32_f32_e32 v1, v1
	s_abs_i32 s2, s2
	s_ashr_i32 s1, s1, 31
	v_readfirstlane_b32 s11, v1
	s_mul_i32 s3, s3, s11
	s_mul_hi_u32 s3, s11, s3
	s_add_i32 s11, s11, s3
	s_mul_hi_u32 s3, s2, s11
	s_mul_i32 s11, s3, s10
	s_sub_i32 s2, s2, s11
	s_add_i32 s11, s3, 1
	s_sub_i32 s16, s2, s10
	s_cmp_ge_u32 s2, s10
	s_cselect_b32 s3, s11, s3
	s_cselect_b32 s2, s16, s2
	s_add_i32 s11, s3, 1
	s_cmp_ge_u32 s2, s10
	s_cselect_b32 s2, s11, s3
	s_xor_b32 s2, s2, s1
	s_sub_i32 s23, s2, s1
	s_mul_i32 s22, s23, s0
	s_cmp_ge_i32 s22, s15
	s_cbranch_scc1 .LBB44_33
; %bb.1:
	s_load_dwordx2 s[10:11], s[4:5], 0x50
	s_load_dwordx4 s[0:3], s[4:5], 0x8
	s_mov_b64 s[30:31], 0
	s_waitcnt lgkmcnt(0)
	s_cmp_eq_u64 s[10:11], 0
	s_cbranch_scc1 .LBB44_3
; %bb.2:
	s_add_u32 s8, s10, s8
	s_addc_u32 s9, s11, s9
	s_load_dword s8, s[8:9], 0x0
	s_waitcnt lgkmcnt(0)
	s_ashr_i32 s9, s8, 31
	s_abs_i32 s8, s8
	s_mul_hi_u32 s10, s8, s13
	s_mul_i32 s11, s10, s7
	s_sub_i32 s8, s8, s11
	s_xor_b32 s9, s9, s14
	s_add_i32 s14, s10, 1
	s_sub_i32 s11, s8, s7
	s_cmp_ge_u32 s8, s7
	s_cselect_b32 s10, s14, s10
	s_cselect_b32 s8, s11, s8
	s_add_i32 s11, s10, 1
	s_cmp_ge_u32 s8, s7
	s_cselect_b32 s8, s11, s10
	s_xor_b32 s8, s8, s9
	s_sub_i32 s30, s8, s9
	s_ashr_i32 s31, s30, 31
.LBB44_3:
	s_load_dwordx2 s[16:17], s[4:5], 0x48
	s_load_dwordx2 s[24:25], s[4:5], 0x0
	s_add_i32 s8, s22, s23
	s_min_i32 s26, s8, s15
	s_cmp_gt_i32 s15, s8
	s_mov_b32 s33, 0
	s_cbranch_scc1 .LBB44_5
; %bb.4:
	s_abs_i32 s9, s12
	s_mul_hi_u32 s10, s9, s13
	s_mul_i32 s10, s10, s7
	s_sub_i32 s9, s9, s10
	s_ashr_i32 s8, s12, 31
	s_sub_i32 s10, s9, s7
	s_cmp_ge_u32 s9, s7
	s_cselect_b32 s9, s10, s9
	s_sub_i32 s10, s9, s7
	s_cmp_ge_u32 s9, s7
	s_cselect_b32 s7, s10, s9
	s_xor_b32 s7, s7, s8
	s_sub_i32 s33, s7, s8
	s_cmp_lg_u32 s33, 0
	s_cselect_b64 s[8:9], -1, 0
	s_cmp_lg_u64 s[8:9], 0
	s_subb_u32 s26, s26, 0
.LBB44_5:
	s_load_dwordx8 s[8:15], s[4:5], 0x28
	s_waitcnt lgkmcnt(0)
	s_mul_i32 s4, s6, s8
	s_ashr_i32 s5, s4, 31
	s_lshl_b64 s[4:5], s[4:5], 2
	s_add_u32 s4, s2, s4
	s_addc_u32 s5, s3, s5
	s_lshl_b64 s[2:3], s[30:31], 2
	s_add_u32 s36, s4, s2
	s_mul_i32 s6, s28, s15
	s_mul_hi_u32 s7, s28, s14
	s_addc_u32 s37, s5, s3
	s_ashr_i32 s2, s28, 31
	s_add_i32 s3, s7, s6
	s_mul_i32 s2, s2, s14
	s_add_i32 s3, s3, s2
	s_mul_i32 s2, s28, s14
	s_lshl_b64 s[2:3], s[2:3], 1
	s_add_u32 s34, s0, s2
	s_addc_u32 s35, s1, s3
	s_cmp_ge_i32 s22, s26
	s_cbranch_scc1 .LBB44_20
; %bb.6:
	s_cmp_gt_i32 s18, 0
	s_cselect_b64 s[2:3], -1, 0
	v_cndmask_b32_e64 v1, 0, 1, s[2:3]
	v_cmp_gt_i32_e64 s[0:1], s19, v0
	v_cmp_ne_u32_e64 s[2:3], 1, v1
	s_movk_i32 s27, 0x80
	s_movk_i32 s38, 0x7f
	v_bfrev_b32_e32 v1, 60
	s_branch .LBB44_8
.LBB44_7:                               ;   in Loop: Header=BB44_8 Depth=1
	s_add_i32 s22, s22, 1
	s_cmp_ge_i32 s22, s26
	s_cbranch_scc1 .LBB44_20
.LBB44_8:                               ; =>This Loop Header: Depth=1
                                        ;     Child Loop BB44_11 Depth 2
                                        ;       Child Loop BB44_16 Depth 3
	s_and_b64 vcc, exec, s[2:3]
	s_cbranch_vccnz .LBB44_7
; %bb.9:                                ;   in Loop: Header=BB44_8 Depth=1
	s_ashr_i32 s23, s22, 31
	s_lshl_b64 s[4:5], s[22:23], 2
	s_add_u32 s4, s36, s4
	s_addc_u32 s5, s37, s5
	s_load_dword s4, s[4:5], 0x0
	s_mov_b32 s42, 0
	s_waitcnt lgkmcnt(0)
	s_ashr_i32 s5, s4, 31
	s_mul_i32 s6, s4, s11
	s_mul_hi_u32 s7, s4, s10
	s_add_i32 s6, s7, s6
	s_mul_i32 s5, s5, s10
	s_mul_i32 s4, s4, s10
	s_add_i32 s6, s6, s5
	s_add_u32 s23, s24, s4
	s_mul_i32 s4, s22, s18
	s_addc_u32 s39, s25, s6
	s_ashr_i32 s5, s4, 31
	s_mul_i32 s6, s4, s15
	s_mul_hi_u32 s7, s4, s14
	s_add_i32 s6, s7, s6
	s_mul_i32 s5, s5, s14
	s_add_i32 s5, s6, s5
	s_mul_i32 s4, s4, s14
	s_lshl_b64 s[4:5], s[4:5], 1
	s_add_u32 s40, s34, s4
	s_addc_u32 s41, s35, s5
	s_branch .LBB44_11
.LBB44_10:                              ;   in Loop: Header=BB44_11 Depth=2
	s_or_b64 exec, exec, s[4:5]
	s_add_i32 s42, s42, 1
	s_cmp_eq_u32 s42, s18
	s_cbranch_scc1 .LBB44_7
.LBB44_11:                              ;   Parent Loop BB44_8 Depth=1
                                        ; =>  This Loop Header: Depth=2
                                        ;       Child Loop BB44_16 Depth 3
	s_and_saveexec_b64 s[4:5], s[0:1]
	s_cbranch_execz .LBB44_10
; %bb.12:                               ;   in Loop: Header=BB44_11 Depth=2
	s_mul_i32 s6, s42, s13
	s_mul_hi_u32 s7, s42, s12
	s_add_i32 s7, s7, s6
	s_mul_i32 s6, s42, s12
	s_add_u32 s43, s23, s6
	s_load_dword s9, s[20:21], 0xc
	s_addc_u32 s8, s39, s7
	s_mul_i32 s6, s42, s15
	s_mul_hi_u32 s7, s42, s14
	s_load_dword s46, s[16:17], 0x0
	s_add_i32 s7, s7, s6
	s_mul_i32 s6, s42, s14
	s_lshl_b64 s[6:7], s[6:7], 1
	s_add_u32 s44, s40, s6
	s_addc_u32 s45, s41, s7
	s_waitcnt lgkmcnt(0)
	s_and_b32 s47, s9, 0xffff
	s_mov_b64 s[6:7], 0
	v_mov_b32_e32 v5, s8
	v_mov_b32_e32 v2, v0
	s_branch .LBB44_16
.LBB44_13:                              ;   in Loop: Header=BB44_16 Depth=3
	s_or_b64 exec, exec, s[30:31]
.LBB44_14:                              ;   in Loop: Header=BB44_16 Depth=3
	s_or_b64 exec, exec, s[28:29]
.LBB44_15:                              ;   in Loop: Header=BB44_16 Depth=3
	s_or_b64 exec, exec, s[8:9]
	v_fma_mixlo_f16 v4, s46, v7, 0
	v_lshlrev_b64 v[6:7], 1, v[2:3]
	v_mov_b32_e32 v3, s45
	v_add_co_u32_e32 v6, vcc, s44, v6
	v_addc_co_u32_e32 v7, vcc, v3, v7, vcc
	v_add_u32_e32 v2, s47, v2
	v_cmp_le_i32_e32 vcc, s19, v2
	s_or_b64 s[6:7], vcc, s[6:7]
	global_store_short v[6:7], v4, off
	s_andn2_b64 exec, exec, s[6:7]
	s_cbranch_execz .LBB44_10
.LBB44_16:                              ;   Parent Loop BB44_8 Depth=1
                                        ;     Parent Loop BB44_11 Depth=2
                                        ; =>    This Inner Loop Header: Depth=3
	v_ashrrev_i32_e32 v3, 31, v2
	v_add_co_u32_e32 v6, vcc, s43, v2
	v_addc_co_u32_e32 v7, vcc, v5, v3, vcc
	global_load_ubyte v6, v[6:7], off
	v_mov_b32_e32 v7, 0
	s_waitcnt vmcnt(0)
	v_cmp_ne_u16_e32 vcc, 0, v6
	s_and_saveexec_b64 s[8:9], vcc
	s_cbranch_execz .LBB44_15
; %bb.17:                               ;   in Loop: Header=BB44_16 Depth=3
	v_cmp_ne_u16_e32 vcc, s27, v6
	v_bfrev_b32_e32 v7, 1
	s_and_saveexec_b64 s[28:29], vcc
	s_cbranch_execz .LBB44_14
; %bb.18:                               ;   in Loop: Header=BB44_16 Depth=3
	v_and_b32_e32 v4, 0xffff, v6
	v_and_b32_e32 v8, 0x7f, v4
	v_cmp_ne_u32_e32 vcc, s38, v8
	v_mov_b32_e32 v7, 0x7f800001
	s_and_saveexec_b64 s[30:31], vcc
	s_cbranch_execz .LBB44_13
; %bb.19:                               ;   in Loop: Header=BB44_16 Depth=3
	v_and_b32_e32 v7, 7, v4
	v_ffbh_u32_e32 v10, v7
	v_min_u32_e32 v12, 32, v10
	v_subrev_u32_e32 v10, 28, v12
	v_lshlrev_b64 v[10:11], v10, v[4:5]
	v_lshrrev_b32_e32 v9, 3, v8
	v_sub_u32_e32 v4, 29, v12
	v_and_b32_e32 v10, 7, v10
	v_cmp_gt_u32_e32 vcc, 8, v8
	v_cndmask_b32_e32 v4, v9, v4, vcc
	v_cndmask_b32_e32 v7, v7, v10, vcc
	v_lshlrev_b32_e32 v6, 24, v6
	v_lshlrev_b32_e32 v7, 20, v7
	v_and_b32_e32 v6, 0x80000000, v6
	v_lshl_add_u32 v4, v4, 23, v1
	v_or3_b32 v7, v6, v4, v7
	s_branch .LBB44_13
.LBB44_20:
	s_cmp_lg_u32 s33, 0
	s_cbranch_scc0 .LBB44_33
; %bb.21:
	s_cmp_lt_i32 s33, 1
	s_cbranch_scc1 .LBB44_33
; %bb.22:
	s_ashr_i32 s27, s26, 31
	s_lshl_b64 s[0:1], s[26:27], 2
	s_add_u32 s0, s36, s0
	s_addc_u32 s1, s37, s1
	s_load_dword s0, s[0:1], 0x0
	v_cmp_gt_i32_e32 vcc, s19, v0
	s_movk_i32 s27, 0x7f
	v_bfrev_b32_e32 v1, 60
	s_waitcnt lgkmcnt(0)
	s_ashr_i32 s1, s0, 31
	s_mul_i32 s2, s0, s11
	s_mul_hi_u32 s3, s0, s10
	s_add_i32 s2, s3, s2
	s_mul_i32 s1, s1, s10
	s_mul_i32 s0, s0, s10
	s_add_i32 s2, s2, s1
	s_add_u32 s22, s24, s0
	s_mul_i32 s0, s26, s18
	s_addc_u32 s23, s25, s2
	s_ashr_i32 s1, s0, 31
	s_mul_i32 s2, s0, s15
	s_mul_hi_u32 s3, s0, s14
	s_add_i32 s2, s3, s2
	s_mul_i32 s1, s1, s14
	s_add_i32 s1, s2, s1
	s_mul_i32 s0, s0, s14
	s_lshl_b64 s[0:1], s[0:1], 1
	s_add_u32 s18, s34, s0
	s_addc_u32 s24, s35, s1
	s_mov_b32 s25, 0
	s_movk_i32 s26, 0x80
	s_branch .LBB44_24
.LBB44_23:                              ;   in Loop: Header=BB44_24 Depth=1
	s_or_b64 exec, exec, s[2:3]
	s_add_i32 s25, s25, 1
	s_cmp_lg_u32 s25, s33
	s_cbranch_scc0 .LBB44_33
.LBB44_24:                              ; =>This Loop Header: Depth=1
                                        ;     Child Loop BB44_29 Depth 2
	s_and_saveexec_b64 s[2:3], vcc
	s_cbranch_execz .LBB44_23
; %bb.25:                               ;   in Loop: Header=BB44_24 Depth=1
	s_mul_i32 s0, s25, s13
	s_mul_hi_u32 s1, s25, s12
	s_add_i32 s1, s1, s0
	s_mul_i32 s0, s25, s12
	s_add_u32 s28, s22, s0
	s_load_dword s4, s[20:21], 0xc
	s_addc_u32 s6, s23, s1
	s_mul_i32 s0, s25, s15
	s_mul_hi_u32 s1, s25, s14
	s_load_dword s31, s[16:17], 0x0
	s_add_i32 s1, s1, s0
	s_mul_i32 s0, s25, s14
	s_lshl_b64 s[0:1], s[0:1], 1
	s_add_u32 s29, s18, s0
	s_addc_u32 s30, s24, s1
	s_waitcnt lgkmcnt(0)
	s_and_b32 s34, s4, 0xffff
	s_mov_b64 s[4:5], 0
	v_mov_b32_e32 v5, s6
	v_mov_b32_e32 v2, v0
	s_branch .LBB44_29
.LBB44_26:                              ;   in Loop: Header=BB44_29 Depth=2
	s_or_b64 exec, exec, s[10:11]
.LBB44_27:                              ;   in Loop: Header=BB44_29 Depth=2
	s_or_b64 exec, exec, s[8:9]
.LBB44_28:                              ;   in Loop: Header=BB44_29 Depth=2
	s_or_b64 exec, exec, s[6:7]
	v_fma_mixlo_f16 v4, s31, v7, 0
	v_lshlrev_b64 v[6:7], 1, v[2:3]
	v_mov_b32_e32 v3, s30
	v_add_co_u32_e64 v6, s[0:1], s29, v6
	v_addc_co_u32_e64 v7, s[0:1], v3, v7, s[0:1]
	v_add_u32_e32 v2, s34, v2
	v_cmp_le_i32_e64 s[0:1], s19, v2
	s_or_b64 s[4:5], s[0:1], s[4:5]
	global_store_short v[6:7], v4, off
	s_andn2_b64 exec, exec, s[4:5]
	s_cbranch_execz .LBB44_23
.LBB44_29:                              ;   Parent Loop BB44_24 Depth=1
                                        ; =>  This Inner Loop Header: Depth=2
	v_ashrrev_i32_e32 v3, 31, v2
	v_add_co_u32_e64 v6, s[0:1], s28, v2
	v_addc_co_u32_e64 v7, s[0:1], v5, v3, s[0:1]
	global_load_ubyte v6, v[6:7], off
	v_mov_b32_e32 v7, 0
	s_waitcnt vmcnt(0)
	v_cmp_ne_u16_e64 s[0:1], 0, v6
	s_and_saveexec_b64 s[6:7], s[0:1]
	s_cbranch_execz .LBB44_28
; %bb.30:                               ;   in Loop: Header=BB44_29 Depth=2
	v_cmp_ne_u16_e64 s[0:1], s26, v6
	v_bfrev_b32_e32 v7, 1
	s_and_saveexec_b64 s[8:9], s[0:1]
	s_cbranch_execz .LBB44_27
; %bb.31:                               ;   in Loop: Header=BB44_29 Depth=2
	v_and_b32_e32 v4, 0xffff, v6
	v_and_b32_e32 v8, 0x7f, v4
	v_cmp_ne_u32_e64 s[0:1], s27, v8
	v_mov_b32_e32 v7, 0x7f800001
	s_and_saveexec_b64 s[10:11], s[0:1]
	s_cbranch_execz .LBB44_26
; %bb.32:                               ;   in Loop: Header=BB44_29 Depth=2
	v_and_b32_e32 v7, 7, v4
	v_ffbh_u32_e32 v10, v7
	v_min_u32_e32 v12, 32, v10
	v_subrev_u32_e32 v10, 28, v12
	v_lshlrev_b64 v[10:11], v10, v[4:5]
	v_lshrrev_b32_e32 v9, 3, v8
	v_sub_u32_e32 v4, 29, v12
	v_and_b32_e32 v10, 7, v10
	v_cmp_gt_u32_e64 s[0:1], 8, v8
	v_cndmask_b32_e64 v4, v9, v4, s[0:1]
	v_cndmask_b32_e64 v7, v7, v10, s[0:1]
	v_lshlrev_b32_e32 v6, 24, v6
	v_lshlrev_b32_e32 v7, 20, v7
	v_and_b32_e32 v6, 0x80000000, v6
	v_lshl_add_u32 v4, v4, 23, v1
	v_or3_b32 v7, v6, v4, v7
	s_branch .LBB44_26
.LBB44_33:
	s_endpgm
	.section	.rodata,"a",@progbits
	.p2align	6, 0x0
	.amdhsa_kernel _ZN4vllm30gather_and_maybe_dequant_cacheIthLNS_18Fp8KVCacheDataTypeE1EEEvPKT0_PT_PKiS8_iillllPKfS8_
		.amdhsa_group_segment_fixed_size 0
		.amdhsa_private_segment_fixed_size 0
		.amdhsa_kernarg_size 344
		.amdhsa_user_sgpr_count 6
		.amdhsa_user_sgpr_private_segment_buffer 1
		.amdhsa_user_sgpr_dispatch_ptr 0
		.amdhsa_user_sgpr_queue_ptr 0
		.amdhsa_user_sgpr_kernarg_segment_ptr 1
		.amdhsa_user_sgpr_dispatch_id 0
		.amdhsa_user_sgpr_flat_scratch_init 0
		.amdhsa_user_sgpr_kernarg_preload_length 0
		.amdhsa_user_sgpr_kernarg_preload_offset 0
		.amdhsa_user_sgpr_private_segment_size 0
		.amdhsa_uses_dynamic_stack 0
		.amdhsa_system_sgpr_private_segment_wavefront_offset 0
		.amdhsa_system_sgpr_workgroup_id_x 1
		.amdhsa_system_sgpr_workgroup_id_y 1
		.amdhsa_system_sgpr_workgroup_id_z 0
		.amdhsa_system_sgpr_workgroup_info 0
		.amdhsa_system_vgpr_workitem_id 0
		.amdhsa_next_free_vgpr 13
		.amdhsa_next_free_sgpr 48
		.amdhsa_accum_offset 16
		.amdhsa_reserve_vcc 1
		.amdhsa_reserve_flat_scratch 0
		.amdhsa_float_round_mode_32 0
		.amdhsa_float_round_mode_16_64 0
		.amdhsa_float_denorm_mode_32 3
		.amdhsa_float_denorm_mode_16_64 3
		.amdhsa_dx10_clamp 1
		.amdhsa_ieee_mode 1
		.amdhsa_fp16_overflow 0
		.amdhsa_tg_split 0
		.amdhsa_exception_fp_ieee_invalid_op 0
		.amdhsa_exception_fp_denorm_src 0
		.amdhsa_exception_fp_ieee_div_zero 0
		.amdhsa_exception_fp_ieee_overflow 0
		.amdhsa_exception_fp_ieee_underflow 0
		.amdhsa_exception_fp_ieee_inexact 0
		.amdhsa_exception_int_div_zero 0
	.end_amdhsa_kernel
	.section	.text._ZN4vllm30gather_and_maybe_dequant_cacheIthLNS_18Fp8KVCacheDataTypeE1EEEvPKT0_PT_PKiS8_iillllPKfS8_,"axG",@progbits,_ZN4vllm30gather_and_maybe_dequant_cacheIthLNS_18Fp8KVCacheDataTypeE1EEEvPKT0_PT_PKiS8_iillllPKfS8_,comdat
.Lfunc_end44:
	.size	_ZN4vllm30gather_and_maybe_dequant_cacheIthLNS_18Fp8KVCacheDataTypeE1EEEvPKT0_PT_PKiS8_iillllPKfS8_, .Lfunc_end44-_ZN4vllm30gather_and_maybe_dequant_cacheIthLNS_18Fp8KVCacheDataTypeE1EEEvPKT0_PT_PKiS8_iillllPKfS8_
                                        ; -- End function
	.section	.AMDGPU.csdata,"",@progbits
; Kernel info:
; codeLenInByte = 1740
; NumSgprs: 52
; NumVgprs: 13
; NumAgprs: 0
; TotalNumVgprs: 13
; ScratchSize: 0
; MemoryBound: 0
; FloatMode: 240
; IeeeMode: 1
; LDSByteSize: 0 bytes/workgroup (compile time only)
; SGPRBlocks: 6
; VGPRBlocks: 1
; NumSGPRsForWavesPerEU: 52
; NumVGPRsForWavesPerEU: 13
; AccumOffset: 16
; Occupancy: 8
; WaveLimiterHint : 1
; COMPUTE_PGM_RSRC2:SCRATCH_EN: 0
; COMPUTE_PGM_RSRC2:USER_SGPR: 6
; COMPUTE_PGM_RSRC2:TRAP_HANDLER: 0
; COMPUTE_PGM_RSRC2:TGID_X_EN: 1
; COMPUTE_PGM_RSRC2:TGID_Y_EN: 1
; COMPUTE_PGM_RSRC2:TGID_Z_EN: 0
; COMPUTE_PGM_RSRC2:TIDIG_COMP_CNT: 0
; COMPUTE_PGM_RSRC3_GFX90A:ACCUM_OFFSET: 3
; COMPUTE_PGM_RSRC3_GFX90A:TG_SPLIT: 0
	.section	.text._ZN4vllm30gather_and_maybe_dequant_cacheI14__hip_bfloat16hLNS_18Fp8KVCacheDataTypeE1EEEvPKT0_PT_PKiS9_iillllPKfS9_,"axG",@progbits,_ZN4vllm30gather_and_maybe_dequant_cacheI14__hip_bfloat16hLNS_18Fp8KVCacheDataTypeE1EEEvPKT0_PT_PKiS9_iillllPKfS9_,comdat
	.protected	_ZN4vllm30gather_and_maybe_dequant_cacheI14__hip_bfloat16hLNS_18Fp8KVCacheDataTypeE1EEEvPKT0_PT_PKiS9_iillllPKfS9_ ; -- Begin function _ZN4vllm30gather_and_maybe_dequant_cacheI14__hip_bfloat16hLNS_18Fp8KVCacheDataTypeE1EEEvPKT0_PT_PKiS9_iillllPKfS9_
	.globl	_ZN4vllm30gather_and_maybe_dequant_cacheI14__hip_bfloat16hLNS_18Fp8KVCacheDataTypeE1EEEvPKT0_PT_PKiS9_iillllPKfS9_
	.p2align	8
	.type	_ZN4vllm30gather_and_maybe_dequant_cacheI14__hip_bfloat16hLNS_18Fp8KVCacheDataTypeE1EEEvPKT0_PT_PKiS9_iillllPKfS9_,@function
_ZN4vllm30gather_and_maybe_dequant_cacheI14__hip_bfloat16hLNS_18Fp8KVCacheDataTypeE1EEEvPKT0_PT_PKiS9_iillllPKfS9_: ; @_ZN4vllm30gather_and_maybe_dequant_cacheI14__hip_bfloat16hLNS_18Fp8KVCacheDataTypeE1EEEvPKT0_PT_PKiS9_iillllPKfS9_
; %bb.0:
	s_load_dwordx4 s[16:19], s[4:5], 0x18
	s_load_dword s1, s[4:5], 0x5c
	s_mov_b32 s0, s7
	s_mov_b32 s7, 0
	s_add_u32 s20, s4, 0x58
	s_addc_u32 s21, s5, 0
	s_lshl_b64 s[8:9], s[6:7], 2
	s_waitcnt lgkmcnt(0)
	s_add_u32 s2, s16, s8
	s_addc_u32 s3, s17, s9
	s_abs_i32 s7, s18
	v_cvt_f32_u32_e32 v1, s7
	s_load_dwordx2 s[28:29], s[2:3], 0x0
	s_sub_i32 s10, 0, s7
	s_ashr_i32 s14, s18, 31
	v_rcp_iflag_f32_e32 v1, v1
	s_waitcnt lgkmcnt(0)
	s_sub_i32 s12, s29, s28
	s_add_i32 s2, s18, s12
	v_mul_f32_e32 v1, 0x4f7ffffe, v1
	v_cvt_u32_f32_e32 v1, v1
	s_add_i32 s2, s2, -1
	s_ashr_i32 s3, s2, 31
	s_abs_i32 s2, s2
	v_readfirstlane_b32 s13, v1
	s_mul_i32 s10, s10, s13
	s_mul_hi_u32 s10, s13, s10
	s_add_i32 s13, s13, s10
	s_mul_hi_u32 s10, s2, s13
	s_mul_i32 s11, s10, s7
	s_sub_i32 s2, s2, s11
	s_xor_b32 s3, s3, s14
	s_add_i32 s11, s10, 1
	s_sub_i32 s15, s2, s7
	s_cmp_ge_u32 s2, s7
	s_cselect_b32 s10, s11, s10
	s_cselect_b32 s2, s15, s2
	s_add_i32 s11, s10, 1
	s_cmp_ge_u32 s2, s7
	s_cselect_b32 s2, s11, s10
	s_abs_i32 s10, s1
	v_cvt_f32_u32_e32 v1, s10
	s_xor_b32 s2, s2, s3
	s_sub_i32 s15, s2, s3
	s_sub_i32 s3, 0, s10
	v_rcp_iflag_f32_e32 v1, v1
	s_add_i32 s2, s1, s15
	s_add_i32 s2, s2, -1
	s_xor_b32 s1, s2, s1
	v_mul_f32_e32 v1, 0x4f7ffffe, v1
	v_cvt_u32_f32_e32 v1, v1
	s_abs_i32 s2, s2
	s_ashr_i32 s1, s1, 31
	v_readfirstlane_b32 s11, v1
	s_mul_i32 s3, s3, s11
	s_mul_hi_u32 s3, s11, s3
	s_add_i32 s11, s11, s3
	s_mul_hi_u32 s3, s2, s11
	s_mul_i32 s11, s3, s10
	s_sub_i32 s2, s2, s11
	s_add_i32 s11, s3, 1
	s_sub_i32 s16, s2, s10
	s_cmp_ge_u32 s2, s10
	s_cselect_b32 s3, s11, s3
	s_cselect_b32 s2, s16, s2
	s_add_i32 s11, s3, 1
	s_cmp_ge_u32 s2, s10
	s_cselect_b32 s2, s11, s3
	s_xor_b32 s2, s2, s1
	s_sub_i32 s23, s2, s1
	s_mul_i32 s22, s23, s0
	s_cmp_ge_i32 s22, s15
	s_cbranch_scc1 .LBB45_41
; %bb.1:
	s_load_dwordx2 s[10:11], s[4:5], 0x50
	s_load_dwordx4 s[0:3], s[4:5], 0x8
	s_mov_b64 s[30:31], 0
	s_waitcnt lgkmcnt(0)
	s_cmp_eq_u64 s[10:11], 0
	s_cbranch_scc1 .LBB45_3
; %bb.2:
	s_add_u32 s8, s10, s8
	s_addc_u32 s9, s11, s9
	s_load_dword s8, s[8:9], 0x0
	s_waitcnt lgkmcnt(0)
	s_ashr_i32 s9, s8, 31
	s_abs_i32 s8, s8
	s_mul_hi_u32 s10, s8, s13
	s_mul_i32 s11, s10, s7
	s_sub_i32 s8, s8, s11
	s_xor_b32 s9, s9, s14
	s_add_i32 s14, s10, 1
	s_sub_i32 s11, s8, s7
	s_cmp_ge_u32 s8, s7
	s_cselect_b32 s10, s14, s10
	s_cselect_b32 s8, s11, s8
	s_add_i32 s11, s10, 1
	s_cmp_ge_u32 s8, s7
	s_cselect_b32 s8, s11, s10
	s_xor_b32 s8, s8, s9
	s_sub_i32 s30, s8, s9
	s_ashr_i32 s31, s30, 31
.LBB45_3:
	s_load_dwordx2 s[16:17], s[4:5], 0x48
	s_load_dwordx2 s[24:25], s[4:5], 0x0
	s_add_i32 s8, s22, s23
	s_min_i32 s26, s8, s15
	s_cmp_gt_i32 s15, s8
	s_mov_b32 s33, 0
	s_cbranch_scc1 .LBB45_5
; %bb.4:
	s_abs_i32 s9, s12
	s_mul_hi_u32 s10, s9, s13
	s_mul_i32 s10, s10, s7
	s_sub_i32 s9, s9, s10
	s_ashr_i32 s8, s12, 31
	s_sub_i32 s10, s9, s7
	s_cmp_ge_u32 s9, s7
	s_cselect_b32 s9, s10, s9
	s_sub_i32 s10, s9, s7
	s_cmp_ge_u32 s9, s7
	s_cselect_b32 s7, s10, s9
	s_xor_b32 s7, s7, s8
	s_sub_i32 s33, s7, s8
	s_cmp_lg_u32 s33, 0
	s_cselect_b64 s[8:9], -1, 0
	s_cmp_lg_u64 s[8:9], 0
	s_subb_u32 s26, s26, 0
.LBB45_5:
	s_load_dwordx8 s[8:15], s[4:5], 0x28
	s_waitcnt lgkmcnt(0)
	s_mul_i32 s4, s6, s8
	s_ashr_i32 s5, s4, 31
	s_lshl_b64 s[4:5], s[4:5], 2
	s_add_u32 s4, s2, s4
	s_addc_u32 s5, s3, s5
	s_lshl_b64 s[2:3], s[30:31], 2
	s_add_u32 s36, s4, s2
	s_mul_i32 s6, s28, s15
	s_mul_hi_u32 s7, s28, s14
	s_addc_u32 s37, s5, s3
	s_ashr_i32 s2, s28, 31
	s_add_i32 s3, s7, s6
	s_mul_i32 s2, s2, s14
	s_add_i32 s3, s3, s2
	s_mul_i32 s2, s28, s14
	s_lshl_b64 s[2:3], s[2:3], 1
	s_add_u32 s34, s0, s2
	s_addc_u32 s35, s1, s3
	s_cmp_ge_i32 s22, s26
	s_cbranch_scc1 .LBB45_24
; %bb.6:
	s_cmp_gt_i32 s18, 0
	s_cselect_b64 s[2:3], -1, 0
	v_cndmask_b32_e64 v1, 0, 1, s[2:3]
	v_cmp_gt_i32_e64 s[0:1], s19, v0
	v_cmp_ne_u32_e64 s[2:3], 1, v1
	s_movk_i32 s27, 0x80
	s_movk_i32 s38, 0x7f
	s_mov_b32 s39, 0x7f800000
	s_movk_i32 s40, 0x7fff
	v_bfrev_b32_e32 v1, 60
	v_mov_b32_e32 v5, 0
	s_branch .LBB45_8
.LBB45_7:                               ;   in Loop: Header=BB45_8 Depth=1
	s_add_i32 s22, s22, 1
	s_cmp_ge_i32 s22, s26
	s_cbranch_scc1 .LBB45_24
.LBB45_8:                               ; =>This Loop Header: Depth=1
                                        ;     Child Loop BB45_11 Depth 2
                                        ;       Child Loop BB45_14 Depth 3
	s_and_b64 vcc, exec, s[2:3]
	s_cbranch_vccnz .LBB45_7
; %bb.9:                                ;   in Loop: Header=BB45_8 Depth=1
	s_ashr_i32 s23, s22, 31
	s_lshl_b64 s[4:5], s[22:23], 2
	s_add_u32 s4, s36, s4
	s_addc_u32 s5, s37, s5
	s_load_dword s4, s[4:5], 0x0
	s_mov_b32 s44, 0
	s_waitcnt lgkmcnt(0)
	s_ashr_i32 s5, s4, 31
	s_mul_i32 s6, s4, s11
	s_mul_hi_u32 s7, s4, s10
	s_add_i32 s6, s7, s6
	s_mul_i32 s5, s5, s10
	s_mul_i32 s4, s4, s10
	s_add_i32 s6, s6, s5
	s_add_u32 s23, s24, s4
	s_mul_i32 s4, s22, s18
	s_addc_u32 s41, s25, s6
	s_ashr_i32 s5, s4, 31
	s_mul_i32 s6, s4, s15
	s_mul_hi_u32 s7, s4, s14
	s_add_i32 s6, s7, s6
	s_mul_i32 s5, s5, s14
	s_add_i32 s5, s6, s5
	s_mul_i32 s4, s4, s14
	s_lshl_b64 s[4:5], s[4:5], 1
	s_add_u32 s42, s34, s4
	s_addc_u32 s43, s35, s5
	s_branch .LBB45_11
.LBB45_10:                              ;   in Loop: Header=BB45_11 Depth=2
	s_or_b64 exec, exec, s[4:5]
	s_add_i32 s44, s44, 1
	s_cmp_eq_u32 s44, s18
	s_cbranch_scc1 .LBB45_7
.LBB45_11:                              ;   Parent Loop BB45_8 Depth=1
                                        ; =>  This Loop Header: Depth=2
                                        ;       Child Loop BB45_14 Depth 3
	s_and_saveexec_b64 s[4:5], s[0:1]
	s_cbranch_execz .LBB45_10
; %bb.12:                               ;   in Loop: Header=BB45_11 Depth=2
	s_mul_i32 s6, s44, s13
	s_mul_hi_u32 s7, s44, s12
	s_add_i32 s7, s7, s6
	s_mul_i32 s6, s44, s12
	s_add_u32 s45, s23, s6
	s_addc_u32 s8, s41, s7
	s_mul_i32 s6, s44, s15
	s_mul_hi_u32 s7, s44, s14
	s_load_dword s9, s[20:21], 0xc
	s_add_i32 s7, s7, s6
	s_mul_i32 s6, s44, s14
	s_load_dword s47, s[16:17], 0x0
	s_lshl_b64 s[6:7], s[6:7], 1
	s_add_u32 s46, s42, s6
	s_addc_u32 s28, s43, s7
	s_waitcnt lgkmcnt(0)
	s_and_b32 s48, s9, 0xffff
	s_mov_b64 s[6:7], 0
	v_mov_b32_e32 v6, s8
	v_mov_b32_e32 v7, s28
	;; [unrolled: 1-line block ×3, first 2 shown]
	s_branch .LBB45_14
.LBB45_13:                              ;   in Loop: Header=BB45_14 Depth=3
	s_or_b64 exec, exec, s[8:9]
	v_lshlrev_b64 v[8:9], 1, v[2:3]
	v_add_co_u32_e32 v8, vcc, s46, v8
	v_addc_co_u32_e32 v9, vcc, v7, v9, vcc
	v_add_u32_e32 v2, s48, v2
	v_cmp_le_i32_e32 vcc, s19, v2
	s_or_b64 s[6:7], vcc, s[6:7]
	global_store_short_d16_hi v[8:9], v4, off
	s_andn2_b64 exec, exec, s[6:7]
	s_cbranch_execz .LBB45_10
.LBB45_14:                              ;   Parent Loop BB45_8 Depth=1
                                        ;     Parent Loop BB45_11 Depth=2
                                        ; =>    This Inner Loop Header: Depth=3
	v_ashrrev_i32_e32 v3, 31, v2
	v_add_co_u32_e32 v8, vcc, s45, v2
	v_addc_co_u32_e32 v9, vcc, v6, v3, vcc
	global_load_ubyte v8, v[8:9], off
	v_mov_b32_e32 v9, 0
	s_waitcnt vmcnt(0)
	v_cmp_ne_u16_e32 vcc, 0, v8
	s_and_saveexec_b64 s[8:9], vcc
	s_cbranch_execz .LBB45_20
; %bb.15:                               ;   in Loop: Header=BB45_14 Depth=3
	v_cmp_ne_u16_e32 vcc, s27, v8
	v_bfrev_b32_e32 v9, 1
	s_and_saveexec_b64 s[28:29], vcc
	s_cbranch_execz .LBB45_19
; %bb.16:                               ;   in Loop: Header=BB45_14 Depth=3
	v_and_b32_e32 v4, 0xffff, v8
	v_and_b32_e32 v10, 0x7f, v4
	v_cmp_ne_u32_e32 vcc, s38, v10
	v_mov_b32_e32 v9, 0x7f800001
	s_and_saveexec_b64 s[30:31], vcc
	s_cbranch_execz .LBB45_18
; %bb.17:                               ;   in Loop: Header=BB45_14 Depth=3
	v_and_b32_e32 v9, 7, v4
	v_ffbh_u32_e32 v12, v9
	v_min_u32_e32 v14, 32, v12
	v_subrev_u32_e32 v12, 28, v14
	v_lshlrev_b64 v[12:13], v12, v[4:5]
	v_lshrrev_b32_e32 v11, 3, v10
	v_sub_u32_e32 v4, 29, v14
	v_and_b32_e32 v12, 7, v12
	v_cmp_gt_u32_e32 vcc, 8, v10
	v_cndmask_b32_e32 v4, v11, v4, vcc
	v_cndmask_b32_e32 v9, v9, v12, vcc
	v_lshlrev_b32_e32 v8, 24, v8
	v_lshlrev_b32_e32 v9, 20, v9
	v_and_b32_e32 v8, 0x80000000, v8
	v_lshl_add_u32 v4, v4, 23, v1
	v_or3_b32 v9, v8, v4, v9
.LBB45_18:                              ;   in Loop: Header=BB45_14 Depth=3
	s_or_b64 exec, exec, s[30:31]
.LBB45_19:                              ;   in Loop: Header=BB45_14 Depth=3
	s_or_b64 exec, exec, s[28:29]
.LBB45_20:                              ;   in Loop: Header=BB45_14 Depth=3
	s_or_b64 exec, exec, s[8:9]
	v_mul_f32_e32 v8, s47, v9
	v_and_b32_e32 v4, 0x7f800000, v8
	v_cmp_ne_u32_e32 vcc, s39, v4
                                        ; implicit-def: $vgpr4
	s_and_saveexec_b64 s[8:9], vcc
	s_xor_b64 s[8:9], exec, s[8:9]
; %bb.21:                               ;   in Loop: Header=BB45_14 Depth=3
	v_bfe_u32 v4, v8, 16, 1
	v_add3_u32 v4, v8, v4, s40
                                        ; implicit-def: $vgpr8
; %bb.22:                               ;   in Loop: Header=BB45_14 Depth=3
	s_andn2_saveexec_b64 s[8:9], s[8:9]
	s_cbranch_execz .LBB45_13
; %bb.23:                               ;   in Loop: Header=BB45_14 Depth=3
	v_or_b32_e32 v4, 0x10000, v8
	v_cmp_eq_u32_sdwa vcc, v8, v5 src0_sel:WORD_0 src1_sel:DWORD
	v_cndmask_b32_e32 v4, v4, v8, vcc
	s_branch .LBB45_13
.LBB45_24:
	s_cmp_lg_u32 s33, 0
	s_cbranch_scc0 .LBB45_41
; %bb.25:
	s_cmp_lt_i32 s33, 1
	s_cbranch_scc1 .LBB45_41
; %bb.26:
	s_ashr_i32 s27, s26, 31
	s_lshl_b64 s[0:1], s[26:27], 2
	s_add_u32 s0, s36, s0
	s_addc_u32 s1, s37, s1
	s_load_dword s0, s[0:1], 0x0
	v_cmp_gt_i32_e32 vcc, s19, v0
	s_movk_i32 s27, 0x7f
	s_mov_b32 s28, 0x7f800000
	s_movk_i32 s29, 0x7fff
	s_waitcnt lgkmcnt(0)
	s_ashr_i32 s1, s0, 31
	s_mul_i32 s2, s0, s11
	s_mul_hi_u32 s3, s0, s10
	s_add_i32 s2, s3, s2
	s_mul_i32 s1, s1, s10
	s_mul_i32 s0, s0, s10
	s_add_i32 s2, s2, s1
	s_add_u32 s22, s24, s0
	s_mul_i32 s0, s26, s18
	s_addc_u32 s23, s25, s2
	s_ashr_i32 s1, s0, 31
	s_mul_i32 s2, s0, s15
	s_mul_hi_u32 s3, s0, s14
	s_add_i32 s2, s3, s2
	s_mul_i32 s1, s1, s14
	s_add_i32 s1, s2, s1
	s_mul_i32 s0, s0, s14
	s_lshl_b64 s[0:1], s[0:1], 1
	s_add_u32 s18, s34, s0
	s_addc_u32 s24, s35, s1
	s_mov_b32 s25, 0
	s_movk_i32 s26, 0x80
	v_bfrev_b32_e32 v1, 60
	v_mov_b32_e32 v5, 0
	s_branch .LBB45_28
.LBB45_27:                              ;   in Loop: Header=BB45_28 Depth=1
	s_or_b64 exec, exec, s[2:3]
	s_add_i32 s25, s25, 1
	s_cmp_lg_u32 s25, s33
	s_cbranch_scc0 .LBB45_41
.LBB45_28:                              ; =>This Loop Header: Depth=1
                                        ;     Child Loop BB45_31 Depth 2
	s_and_saveexec_b64 s[2:3], vcc
	s_cbranch_execz .LBB45_27
; %bb.29:                               ;   in Loop: Header=BB45_28 Depth=1
	s_mul_i32 s0, s25, s13
	s_mul_hi_u32 s1, s25, s12
	s_add_i32 s1, s1, s0
	s_mul_i32 s0, s25, s12
	s_add_u32 s30, s22, s0
	s_addc_u32 s6, s23, s1
	s_mul_i32 s0, s25, s15
	s_mul_hi_u32 s1, s25, s14
	s_load_dword s4, s[20:21], 0xc
	s_add_i32 s1, s1, s0
	s_mul_i32 s0, s25, s14
	s_load_dword s34, s[16:17], 0x0
	s_lshl_b64 s[0:1], s[0:1], 1
	s_add_u32 s31, s18, s0
	s_addc_u32 s0, s24, s1
	s_waitcnt lgkmcnt(0)
	s_and_b32 s35, s4, 0xffff
	s_mov_b64 s[4:5], 0
	v_mov_b32_e32 v6, s6
	v_mov_b32_e32 v7, s0
	v_mov_b32_e32 v2, v0
	s_branch .LBB45_31
.LBB45_30:                              ;   in Loop: Header=BB45_31 Depth=2
	s_or_b64 exec, exec, s[6:7]
	v_lshlrev_b64 v[8:9], 1, v[2:3]
	v_add_co_u32_e64 v8, s[0:1], s31, v8
	v_addc_co_u32_e64 v9, s[0:1], v7, v9, s[0:1]
	v_add_u32_e32 v2, s35, v2
	v_cmp_le_i32_e64 s[0:1], s19, v2
	s_or_b64 s[4:5], s[0:1], s[4:5]
	global_store_short_d16_hi v[8:9], v4, off
	s_andn2_b64 exec, exec, s[4:5]
	s_cbranch_execz .LBB45_27
.LBB45_31:                              ;   Parent Loop BB45_28 Depth=1
                                        ; =>  This Inner Loop Header: Depth=2
	v_ashrrev_i32_e32 v3, 31, v2
	v_add_co_u32_e64 v8, s[0:1], s30, v2
	v_addc_co_u32_e64 v9, s[0:1], v6, v3, s[0:1]
	global_load_ubyte v8, v[8:9], off
	v_mov_b32_e32 v9, 0
	s_waitcnt vmcnt(0)
	v_cmp_ne_u16_e64 s[0:1], 0, v8
	s_and_saveexec_b64 s[6:7], s[0:1]
	s_cbranch_execz .LBB45_37
; %bb.32:                               ;   in Loop: Header=BB45_31 Depth=2
	v_cmp_ne_u16_e64 s[0:1], s26, v8
	v_bfrev_b32_e32 v9, 1
	s_and_saveexec_b64 s[8:9], s[0:1]
	s_cbranch_execz .LBB45_36
; %bb.33:                               ;   in Loop: Header=BB45_31 Depth=2
	v_and_b32_e32 v4, 0xffff, v8
	v_and_b32_e32 v10, 0x7f, v4
	v_cmp_ne_u32_e64 s[0:1], s27, v10
	v_mov_b32_e32 v9, 0x7f800001
	s_and_saveexec_b64 s[10:11], s[0:1]
	s_cbranch_execz .LBB45_35
; %bb.34:                               ;   in Loop: Header=BB45_31 Depth=2
	v_and_b32_e32 v9, 7, v4
	v_ffbh_u32_e32 v12, v9
	v_min_u32_e32 v14, 32, v12
	v_subrev_u32_e32 v12, 28, v14
	v_lshlrev_b64 v[12:13], v12, v[4:5]
	v_lshrrev_b32_e32 v11, 3, v10
	v_sub_u32_e32 v4, 29, v14
	v_and_b32_e32 v12, 7, v12
	v_cmp_gt_u32_e64 s[0:1], 8, v10
	v_cndmask_b32_e64 v4, v11, v4, s[0:1]
	v_cndmask_b32_e64 v9, v9, v12, s[0:1]
	v_lshlrev_b32_e32 v8, 24, v8
	v_lshlrev_b32_e32 v9, 20, v9
	v_and_b32_e32 v8, 0x80000000, v8
	v_lshl_add_u32 v4, v4, 23, v1
	v_or3_b32 v9, v8, v4, v9
.LBB45_35:                              ;   in Loop: Header=BB45_31 Depth=2
	s_or_b64 exec, exec, s[10:11]
.LBB45_36:                              ;   in Loop: Header=BB45_31 Depth=2
	s_or_b64 exec, exec, s[8:9]
.LBB45_37:                              ;   in Loop: Header=BB45_31 Depth=2
	s_or_b64 exec, exec, s[6:7]
	v_mul_f32_e32 v8, s34, v9
	v_and_b32_e32 v4, 0x7f800000, v8
	v_cmp_ne_u32_e64 s[0:1], s28, v4
                                        ; implicit-def: $vgpr4
	s_and_saveexec_b64 s[6:7], s[0:1]
	s_xor_b64 s[0:1], exec, s[6:7]
; %bb.38:                               ;   in Loop: Header=BB45_31 Depth=2
	v_bfe_u32 v4, v8, 16, 1
	v_add3_u32 v4, v8, v4, s29
                                        ; implicit-def: $vgpr8
; %bb.39:                               ;   in Loop: Header=BB45_31 Depth=2
	s_andn2_saveexec_b64 s[6:7], s[0:1]
	s_cbranch_execz .LBB45_30
; %bb.40:                               ;   in Loop: Header=BB45_31 Depth=2
	v_or_b32_e32 v4, 0x10000, v8
	v_cmp_eq_u32_sdwa s[0:1], v8, v5 src0_sel:WORD_0 src1_sel:DWORD
	v_cndmask_b32_e64 v4, v4, v8, s[0:1]
	s_branch .LBB45_30
.LBB45_41:
	s_endpgm
	.section	.rodata,"a",@progbits
	.p2align	6, 0x0
	.amdhsa_kernel _ZN4vllm30gather_and_maybe_dequant_cacheI14__hip_bfloat16hLNS_18Fp8KVCacheDataTypeE1EEEvPKT0_PT_PKiS9_iillllPKfS9_
		.amdhsa_group_segment_fixed_size 0
		.amdhsa_private_segment_fixed_size 0
		.amdhsa_kernarg_size 344
		.amdhsa_user_sgpr_count 6
		.amdhsa_user_sgpr_private_segment_buffer 1
		.amdhsa_user_sgpr_dispatch_ptr 0
		.amdhsa_user_sgpr_queue_ptr 0
		.amdhsa_user_sgpr_kernarg_segment_ptr 1
		.amdhsa_user_sgpr_dispatch_id 0
		.amdhsa_user_sgpr_flat_scratch_init 0
		.amdhsa_user_sgpr_kernarg_preload_length 0
		.amdhsa_user_sgpr_kernarg_preload_offset 0
		.amdhsa_user_sgpr_private_segment_size 0
		.amdhsa_uses_dynamic_stack 0
		.amdhsa_system_sgpr_private_segment_wavefront_offset 0
		.amdhsa_system_sgpr_workgroup_id_x 1
		.amdhsa_system_sgpr_workgroup_id_y 1
		.amdhsa_system_sgpr_workgroup_id_z 0
		.amdhsa_system_sgpr_workgroup_info 0
		.amdhsa_system_vgpr_workitem_id 0
		.amdhsa_next_free_vgpr 15
		.amdhsa_next_free_sgpr 49
		.amdhsa_accum_offset 16
		.amdhsa_reserve_vcc 1
		.amdhsa_reserve_flat_scratch 0
		.amdhsa_float_round_mode_32 0
		.amdhsa_float_round_mode_16_64 0
		.amdhsa_float_denorm_mode_32 3
		.amdhsa_float_denorm_mode_16_64 3
		.amdhsa_dx10_clamp 1
		.amdhsa_ieee_mode 1
		.amdhsa_fp16_overflow 0
		.amdhsa_tg_split 0
		.amdhsa_exception_fp_ieee_invalid_op 0
		.amdhsa_exception_fp_denorm_src 0
		.amdhsa_exception_fp_ieee_div_zero 0
		.amdhsa_exception_fp_ieee_overflow 0
		.amdhsa_exception_fp_ieee_underflow 0
		.amdhsa_exception_fp_ieee_inexact 0
		.amdhsa_exception_int_div_zero 0
	.end_amdhsa_kernel
	.section	.text._ZN4vllm30gather_and_maybe_dequant_cacheI14__hip_bfloat16hLNS_18Fp8KVCacheDataTypeE1EEEvPKT0_PT_PKiS9_iillllPKfS9_,"axG",@progbits,_ZN4vllm30gather_and_maybe_dequant_cacheI14__hip_bfloat16hLNS_18Fp8KVCacheDataTypeE1EEEvPKT0_PT_PKiS9_iillllPKfS9_,comdat
.Lfunc_end45:
	.size	_ZN4vllm30gather_and_maybe_dequant_cacheI14__hip_bfloat16hLNS_18Fp8KVCacheDataTypeE1EEEvPKT0_PT_PKiS9_iillllPKfS9_, .Lfunc_end45-_ZN4vllm30gather_and_maybe_dequant_cacheI14__hip_bfloat16hLNS_18Fp8KVCacheDataTypeE1EEEvPKT0_PT_PKiS9_iillllPKfS9_
                                        ; -- End function
	.section	.AMDGPU.csdata,"",@progbits
; Kernel info:
; codeLenInByte = 1908
; NumSgprs: 53
; NumVgprs: 15
; NumAgprs: 0
; TotalNumVgprs: 15
; ScratchSize: 0
; MemoryBound: 0
; FloatMode: 240
; IeeeMode: 1
; LDSByteSize: 0 bytes/workgroup (compile time only)
; SGPRBlocks: 6
; VGPRBlocks: 1
; NumSGPRsForWavesPerEU: 53
; NumVGPRsForWavesPerEU: 15
; AccumOffset: 16
; Occupancy: 8
; WaveLimiterHint : 1
; COMPUTE_PGM_RSRC2:SCRATCH_EN: 0
; COMPUTE_PGM_RSRC2:USER_SGPR: 6
; COMPUTE_PGM_RSRC2:TRAP_HANDLER: 0
; COMPUTE_PGM_RSRC2:TGID_X_EN: 1
; COMPUTE_PGM_RSRC2:TGID_Y_EN: 1
; COMPUTE_PGM_RSRC2:TGID_Z_EN: 0
; COMPUTE_PGM_RSRC2:TIDIG_COMP_CNT: 0
; COMPUTE_PGM_RSRC3_GFX90A:ACCUM_OFFSET: 3
; COMPUTE_PGM_RSRC3_GFX90A:TG_SPLIT: 0
	.section	.text._ZN4vllm15cp_gather_cacheIjEEvPKT_PS1_PKiS6_iillllS6_,"axG",@progbits,_ZN4vllm15cp_gather_cacheIjEEvPKT_PS1_PKiS6_iillllS6_,comdat
	.protected	_ZN4vllm15cp_gather_cacheIjEEvPKT_PS1_PKiS6_iillllS6_ ; -- Begin function _ZN4vllm15cp_gather_cacheIjEEvPKT_PS1_PKiS6_iillllS6_
	.globl	_ZN4vllm15cp_gather_cacheIjEEvPKT_PS1_PKiS6_iillllS6_
	.p2align	8
	.type	_ZN4vllm15cp_gather_cacheIjEEvPKT_PS1_PKiS6_iillllS6_,@function
_ZN4vllm15cp_gather_cacheIjEEvPKT_PS1_PKiS6_iillllS6_: ; @_ZN4vllm15cp_gather_cacheIjEEvPKT_PS1_PKiS6_iillllS6_
; %bb.0:
	s_load_dwordx2 s[10:11], s[4:5], 0x18
	s_load_dword s1, s[4:5], 0x54
	s_mov_b32 s0, s7
	s_mov_b32 s7, 0
	s_add_u32 s2, s4, 0x50
	s_addc_u32 s3, s5, 0
	s_lshl_b64 s[8:9], s[6:7], 2
	s_waitcnt lgkmcnt(0)
	s_add_u32 s10, s10, s8
	s_addc_u32 s11, s11, s9
	s_abs_i32 s7, s1
	v_cvt_f32_u32_e32 v1, s7
	s_load_dwordx2 s[22:23], s[10:11], 0x0
	s_sub_i32 s12, 0, s7
	v_rcp_iflag_f32_e32 v1, v1
	s_waitcnt lgkmcnt(0)
	s_sub_i32 s10, s23, s22
	s_add_i32 s11, s1, s10
	v_mul_f32_e32 v1, 0x4f7ffffe, v1
	v_cvt_u32_f32_e32 v1, v1
	s_add_i32 s11, s11, -1
	s_xor_b32 s1, s11, s1
	s_abs_i32 s11, s11
	v_readfirstlane_b32 s13, v1
	s_mul_i32 s12, s12, s13
	s_mul_hi_u32 s12, s13, s12
	s_add_i32 s13, s13, s12
	s_mul_hi_u32 s12, s11, s13
	s_mul_i32 s13, s12, s7
	s_sub_i32 s11, s11, s13
	s_ashr_i32 s1, s1, 31
	s_add_i32 s13, s12, 1
	s_sub_i32 s14, s11, s7
	s_cmp_ge_u32 s11, s7
	s_cselect_b32 s12, s13, s12
	s_cselect_b32 s11, s14, s11
	s_add_i32 s13, s12, 1
	s_cmp_ge_u32 s11, s7
	s_cselect_b32 s7, s13, s12
	s_xor_b32 s7, s7, s1
	s_sub_i32 s11, s7, s1
	s_mul_i32 s23, s11, s0
	s_cmp_ge_i32 s23, s10
	s_cbranch_scc1 .LBB46_9
; %bb.1:
	s_load_dwordx2 s[0:1], s[4:5], 0x48
	s_mov_b32 s7, s23
	s_waitcnt lgkmcnt(0)
	s_cmp_eq_u64 s[0:1], 0
	s_cbranch_scc1 .LBB46_3
; %bb.2:
	s_add_u32 s0, s0, s8
	s_addc_u32 s1, s1, s9
	s_load_dword s0, s[0:1], 0x0
	s_waitcnt lgkmcnt(0)
	s_add_i32 s7, s0, s23
.LBB46_3:
	s_add_i32 s0, s23, s11
	s_min_i32 s24, s0, s10
	s_cmp_ge_i32 s23, s24
	s_cbranch_scc1 .LBB46_9
; %bb.4:
	s_load_dwordx8 s[8:15], s[4:5], 0x28
	s_load_dwordx4 s[16:19], s[4:5], 0x0
	s_load_dwordx2 s[0:1], s[4:5], 0x10
	s_load_dwordx2 s[20:21], s[4:5], 0x20
	s_waitcnt lgkmcnt(0)
	s_mul_i32 s4, s6, s8
	s_ashr_i32 s5, s4, 31
	s_lshl_b64 s[4:5], s[4:5], 2
	s_add_u32 s25, s0, s4
	s_addc_u32 s26, s1, s5
	s_ashr_i32 s0, s22, 31
	s_mul_i32 s1, s22, s15
	s_mul_hi_u32 s4, s22, s14
	s_add_i32 s1, s4, s1
	s_mul_i32 s0, s0, s14
	s_add_i32 s1, s1, s0
	s_mul_i32 s0, s22, s14
	s_lshl_b64 s[0:1], s[0:1], 2
	s_add_u32 s18, s18, s0
	s_addc_u32 s19, s19, s1
	s_abs_i32 s0, s20
	v_cvt_f32_u32_e32 v1, s0
	s_sub_i32 s5, 0, s0
	s_abs_i32 s4, s7
	s_xor_b32 s1, s7, s20
	v_rcp_iflag_f32_e32 v1, v1
	s_ashr_i32 s1, s1, 31
	v_cmp_gt_i32_e32 vcc, s21, v0
	v_mul_f32_e32 v1, 0x4f7ffffe, v1
	v_cvt_u32_f32_e32 v1, v1
	v_readfirstlane_b32 s6, v1
	s_mul_i32 s5, s5, s6
	s_mul_hi_u32 s5, s6, s5
	s_add_i32 s6, s6, s5
	s_mul_hi_u32 s5, s4, s6
	s_mul_i32 s6, s5, s0
	s_sub_i32 s4, s4, s6
	s_add_i32 s6, s5, 1
	s_sub_i32 s8, s4, s0
	s_cmp_ge_u32 s4, s0
	s_cselect_b32 s5, s6, s5
	s_cselect_b32 s4, s8, s4
	s_add_i32 s6, s5, 1
	s_cmp_ge_u32 s4, s0
	s_cselect_b32 s0, s6, s5
	s_xor_b32 s0, s0, s1
	s_sub_i32 s4, s0, s1
	s_mul_i32 s0, s4, s20
	s_sub_i32 s22, s7, s0
	s_branch .LBB46_6
.LBB46_5:                               ;   in Loop: Header=BB46_6 Depth=1
	s_or_b64 exec, exec, s[6:7]
	s_add_i32 s5, s22, 1
	s_cmp_eq_u32 s5, s20
	s_cselect_b64 s[0:1], -1, 0
	s_and_b64 s[6:7], s[0:1], exec
	s_cselect_b32 s22, 0, s5
	s_cmp_lg_u64 s[0:1], 0
	s_addc_u32 s4, s4, 0
	s_add_i32 s23, s23, 1
	s_cmp_lt_i32 s23, s24
	s_cbranch_scc0 .LBB46_9
.LBB46_6:                               ; =>This Loop Header: Depth=1
                                        ;     Child Loop BB46_8 Depth 2
	s_and_saveexec_b64 s[6:7], vcc
	s_cbranch_execz .LBB46_5
; %bb.7:                                ;   in Loop: Header=BB46_6 Depth=1
	s_ashr_i32 s5, s4, 31
	s_lshl_b64 s[0:1], s[4:5], 2
	s_add_u32 s0, s25, s0
	s_addc_u32 s1, s26, s1
	s_load_dword s0, s[0:1], 0x0
	s_mul_hi_u32 s27, s22, s12
	s_load_dword s28, s[2:3], 0xc
	v_mov_b32_e32 v2, v0
	s_waitcnt lgkmcnt(0)
	s_ashr_i32 s1, s0, 31
	s_mul_i32 s5, s0, s11
	s_mul_hi_u32 s8, s0, s10
	s_add_i32 s5, s8, s5
	s_mul_i32 s1, s1, s10
	s_mul_i32 s0, s0, s10
	s_add_i32 s1, s5, s1
	s_lshl_b64 s[0:1], s[0:1], 2
	s_add_u32 s8, s16, s0
	s_addc_u32 s9, s17, s1
	s_ashr_i32 s0, s23, 31
	s_mul_i32 s1, s23, s15
	s_mul_hi_u32 s5, s23, s14
	s_add_i32 s1, s5, s1
	s_mul_i32 s0, s0, s14
	s_add_i32 s1, s1, s0
	s_mul_i32 s0, s23, s14
	s_lshl_b64 s[0:1], s[0:1], 2
	s_add_u32 s5, s18, s0
	s_addc_u32 s29, s19, s1
	s_ashr_i32 s0, s22, 31
	s_mul_i32 s1, s22, s13
	s_add_i32 s1, s27, s1
	s_mul_i32 s0, s0, s12
	s_add_i32 s1, s1, s0
	s_mul_i32 s0, s22, s12
	s_lshl_b64 s[0:1], s[0:1], 2
	s_add_u32 s27, s8, s0
	s_addc_u32 s0, s9, s1
	s_and_b32 s28, s28, 0xffff
	s_mov_b64 s[8:9], 0
	v_mov_b32_e32 v1, s0
	v_mov_b32_e32 v4, s29
.LBB46_8:                               ;   Parent Loop BB46_6 Depth=1
                                        ; =>  This Inner Loop Header: Depth=2
	v_ashrrev_i32_e32 v3, 31, v2
	v_lshlrev_b64 v[6:7], 2, v[2:3]
	v_add_co_u32_e64 v8, s[0:1], s27, v6
	v_addc_co_u32_e64 v9, s[0:1], v1, v7, s[0:1]
	global_load_dword v3, v[8:9], off
	v_add_co_u32_e64 v6, s[0:1], s5, v6
	v_addc_co_u32_e64 v7, s[0:1], v4, v7, s[0:1]
	v_add_u32_e32 v2, s28, v2
	v_cmp_le_i32_e64 s[0:1], s21, v2
	s_or_b64 s[8:9], s[0:1], s[8:9]
	s_waitcnt vmcnt(0)
	global_store_dword v[6:7], v3, off
	s_andn2_b64 exec, exec, s[8:9]
	s_cbranch_execnz .LBB46_8
	s_branch .LBB46_5
.LBB46_9:
	s_endpgm
	.section	.rodata,"a",@progbits
	.p2align	6, 0x0
	.amdhsa_kernel _ZN4vllm15cp_gather_cacheIjEEvPKT_PS1_PKiS6_iillllS6_
		.amdhsa_group_segment_fixed_size 0
		.amdhsa_private_segment_fixed_size 0
		.amdhsa_kernarg_size 336
		.amdhsa_user_sgpr_count 6
		.amdhsa_user_sgpr_private_segment_buffer 1
		.amdhsa_user_sgpr_dispatch_ptr 0
		.amdhsa_user_sgpr_queue_ptr 0
		.amdhsa_user_sgpr_kernarg_segment_ptr 1
		.amdhsa_user_sgpr_dispatch_id 0
		.amdhsa_user_sgpr_flat_scratch_init 0
		.amdhsa_user_sgpr_kernarg_preload_length 0
		.amdhsa_user_sgpr_kernarg_preload_offset 0
		.amdhsa_user_sgpr_private_segment_size 0
		.amdhsa_uses_dynamic_stack 0
		.amdhsa_system_sgpr_private_segment_wavefront_offset 0
		.amdhsa_system_sgpr_workgroup_id_x 1
		.amdhsa_system_sgpr_workgroup_id_y 1
		.amdhsa_system_sgpr_workgroup_id_z 0
		.amdhsa_system_sgpr_workgroup_info 0
		.amdhsa_system_vgpr_workitem_id 0
		.amdhsa_next_free_vgpr 10
		.amdhsa_next_free_sgpr 30
		.amdhsa_accum_offset 12
		.amdhsa_reserve_vcc 1
		.amdhsa_reserve_flat_scratch 0
		.amdhsa_float_round_mode_32 0
		.amdhsa_float_round_mode_16_64 0
		.amdhsa_float_denorm_mode_32 3
		.amdhsa_float_denorm_mode_16_64 3
		.amdhsa_dx10_clamp 1
		.amdhsa_ieee_mode 1
		.amdhsa_fp16_overflow 0
		.amdhsa_tg_split 0
		.amdhsa_exception_fp_ieee_invalid_op 0
		.amdhsa_exception_fp_denorm_src 0
		.amdhsa_exception_fp_ieee_div_zero 0
		.amdhsa_exception_fp_ieee_overflow 0
		.amdhsa_exception_fp_ieee_underflow 0
		.amdhsa_exception_fp_ieee_inexact 0
		.amdhsa_exception_int_div_zero 0
	.end_amdhsa_kernel
	.section	.text._ZN4vllm15cp_gather_cacheIjEEvPKT_PS1_PKiS6_iillllS6_,"axG",@progbits,_ZN4vllm15cp_gather_cacheIjEEvPKT_PS1_PKiS6_iillllS6_,comdat
.Lfunc_end46:
	.size	_ZN4vllm15cp_gather_cacheIjEEvPKT_PS1_PKiS6_iillllS6_, .Lfunc_end46-_ZN4vllm15cp_gather_cacheIjEEvPKT_PS1_PKiS6_iillllS6_
                                        ; -- End function
	.section	.AMDGPU.csdata,"",@progbits
; Kernel info:
; codeLenInByte = 808
; NumSgprs: 34
; NumVgprs: 10
; NumAgprs: 0
; TotalNumVgprs: 10
; ScratchSize: 0
; MemoryBound: 0
; FloatMode: 240
; IeeeMode: 1
; LDSByteSize: 0 bytes/workgroup (compile time only)
; SGPRBlocks: 4
; VGPRBlocks: 1
; NumSGPRsForWavesPerEU: 34
; NumVGPRsForWavesPerEU: 10
; AccumOffset: 12
; Occupancy: 8
; WaveLimiterHint : 1
; COMPUTE_PGM_RSRC2:SCRATCH_EN: 0
; COMPUTE_PGM_RSRC2:USER_SGPR: 6
; COMPUTE_PGM_RSRC2:TRAP_HANDLER: 0
; COMPUTE_PGM_RSRC2:TGID_X_EN: 1
; COMPUTE_PGM_RSRC2:TGID_Y_EN: 1
; COMPUTE_PGM_RSRC2:TGID_Z_EN: 0
; COMPUTE_PGM_RSRC2:TIDIG_COMP_CNT: 0
; COMPUTE_PGM_RSRC3_GFX90A:ACCUM_OFFSET: 2
; COMPUTE_PGM_RSRC3_GFX90A:TG_SPLIT: 0
	.section	.text._ZN4vllm15cp_gather_cacheItEEvPKT_PS1_PKiS6_iillllS6_,"axG",@progbits,_ZN4vllm15cp_gather_cacheItEEvPKT_PS1_PKiS6_iillllS6_,comdat
	.protected	_ZN4vllm15cp_gather_cacheItEEvPKT_PS1_PKiS6_iillllS6_ ; -- Begin function _ZN4vllm15cp_gather_cacheItEEvPKT_PS1_PKiS6_iillllS6_
	.globl	_ZN4vllm15cp_gather_cacheItEEvPKT_PS1_PKiS6_iillllS6_
	.p2align	8
	.type	_ZN4vllm15cp_gather_cacheItEEvPKT_PS1_PKiS6_iillllS6_,@function
_ZN4vllm15cp_gather_cacheItEEvPKT_PS1_PKiS6_iillllS6_: ; @_ZN4vllm15cp_gather_cacheItEEvPKT_PS1_PKiS6_iillllS6_
; %bb.0:
	s_load_dwordx2 s[10:11], s[4:5], 0x18
	s_load_dword s1, s[4:5], 0x54
	s_mov_b32 s0, s7
	s_mov_b32 s7, 0
	s_add_u32 s2, s4, 0x50
	s_addc_u32 s3, s5, 0
	s_lshl_b64 s[8:9], s[6:7], 2
	s_waitcnt lgkmcnt(0)
	s_add_u32 s10, s10, s8
	s_addc_u32 s11, s11, s9
	s_abs_i32 s7, s1
	v_cvt_f32_u32_e32 v1, s7
	s_load_dwordx2 s[22:23], s[10:11], 0x0
	s_sub_i32 s12, 0, s7
	v_rcp_iflag_f32_e32 v1, v1
	s_waitcnt lgkmcnt(0)
	s_sub_i32 s10, s23, s22
	s_add_i32 s11, s1, s10
	v_mul_f32_e32 v1, 0x4f7ffffe, v1
	v_cvt_u32_f32_e32 v1, v1
	s_add_i32 s11, s11, -1
	s_xor_b32 s1, s11, s1
	s_abs_i32 s11, s11
	v_readfirstlane_b32 s13, v1
	s_mul_i32 s12, s12, s13
	s_mul_hi_u32 s12, s13, s12
	s_add_i32 s13, s13, s12
	s_mul_hi_u32 s12, s11, s13
	s_mul_i32 s13, s12, s7
	s_sub_i32 s11, s11, s13
	s_ashr_i32 s1, s1, 31
	s_add_i32 s13, s12, 1
	s_sub_i32 s14, s11, s7
	s_cmp_ge_u32 s11, s7
	s_cselect_b32 s12, s13, s12
	s_cselect_b32 s11, s14, s11
	s_add_i32 s13, s12, 1
	s_cmp_ge_u32 s11, s7
	s_cselect_b32 s7, s13, s12
	s_xor_b32 s7, s7, s1
	s_sub_i32 s11, s7, s1
	s_mul_i32 s23, s11, s0
	s_cmp_ge_i32 s23, s10
	s_cbranch_scc1 .LBB47_9
; %bb.1:
	s_load_dwordx2 s[0:1], s[4:5], 0x48
	s_mov_b32 s7, s23
	s_waitcnt lgkmcnt(0)
	s_cmp_eq_u64 s[0:1], 0
	s_cbranch_scc1 .LBB47_3
; %bb.2:
	s_add_u32 s0, s0, s8
	s_addc_u32 s1, s1, s9
	s_load_dword s0, s[0:1], 0x0
	s_waitcnt lgkmcnt(0)
	s_add_i32 s7, s0, s23
.LBB47_3:
	s_add_i32 s0, s23, s11
	s_min_i32 s24, s0, s10
	s_cmp_ge_i32 s23, s24
	s_cbranch_scc1 .LBB47_9
; %bb.4:
	s_load_dwordx8 s[8:15], s[4:5], 0x28
	s_load_dwordx4 s[16:19], s[4:5], 0x0
	s_load_dwordx2 s[0:1], s[4:5], 0x10
	s_load_dwordx2 s[20:21], s[4:5], 0x20
	s_waitcnt lgkmcnt(0)
	s_mul_i32 s4, s6, s8
	s_ashr_i32 s5, s4, 31
	s_lshl_b64 s[4:5], s[4:5], 2
	s_add_u32 s25, s0, s4
	s_addc_u32 s26, s1, s5
	s_ashr_i32 s0, s22, 31
	s_mul_i32 s1, s22, s15
	s_mul_hi_u32 s4, s22, s14
	s_add_i32 s1, s4, s1
	s_mul_i32 s0, s0, s14
	s_add_i32 s1, s1, s0
	s_mul_i32 s0, s22, s14
	s_lshl_b64 s[0:1], s[0:1], 1
	s_add_u32 s18, s18, s0
	s_addc_u32 s19, s19, s1
	s_abs_i32 s0, s20
	v_cvt_f32_u32_e32 v1, s0
	s_sub_i32 s5, 0, s0
	s_abs_i32 s4, s7
	s_xor_b32 s1, s7, s20
	v_rcp_iflag_f32_e32 v1, v1
	s_ashr_i32 s1, s1, 31
	v_cmp_gt_i32_e32 vcc, s21, v0
	v_mul_f32_e32 v1, 0x4f7ffffe, v1
	v_cvt_u32_f32_e32 v1, v1
	v_readfirstlane_b32 s6, v1
	s_mul_i32 s5, s5, s6
	s_mul_hi_u32 s5, s6, s5
	s_add_i32 s6, s6, s5
	s_mul_hi_u32 s5, s4, s6
	s_mul_i32 s6, s5, s0
	s_sub_i32 s4, s4, s6
	s_add_i32 s6, s5, 1
	s_sub_i32 s8, s4, s0
	s_cmp_ge_u32 s4, s0
	s_cselect_b32 s5, s6, s5
	s_cselect_b32 s4, s8, s4
	s_add_i32 s6, s5, 1
	s_cmp_ge_u32 s4, s0
	s_cselect_b32 s0, s6, s5
	s_xor_b32 s0, s0, s1
	s_sub_i32 s4, s0, s1
	s_mul_i32 s0, s4, s20
	s_sub_i32 s22, s7, s0
	s_branch .LBB47_6
.LBB47_5:                               ;   in Loop: Header=BB47_6 Depth=1
	s_or_b64 exec, exec, s[6:7]
	s_add_i32 s5, s22, 1
	s_cmp_eq_u32 s5, s20
	s_cselect_b64 s[0:1], -1, 0
	s_and_b64 s[6:7], s[0:1], exec
	s_cselect_b32 s22, 0, s5
	s_cmp_lg_u64 s[0:1], 0
	s_addc_u32 s4, s4, 0
	s_add_i32 s23, s23, 1
	s_cmp_lt_i32 s23, s24
	s_cbranch_scc0 .LBB47_9
.LBB47_6:                               ; =>This Loop Header: Depth=1
                                        ;     Child Loop BB47_8 Depth 2
	s_and_saveexec_b64 s[6:7], vcc
	s_cbranch_execz .LBB47_5
; %bb.7:                                ;   in Loop: Header=BB47_6 Depth=1
	s_ashr_i32 s5, s4, 31
	s_lshl_b64 s[0:1], s[4:5], 2
	s_add_u32 s0, s25, s0
	s_addc_u32 s1, s26, s1
	s_load_dword s0, s[0:1], 0x0
	s_mul_hi_u32 s27, s22, s12
	s_load_dword s28, s[2:3], 0xc
	v_mov_b32_e32 v2, v0
	s_waitcnt lgkmcnt(0)
	s_ashr_i32 s1, s0, 31
	s_mul_i32 s5, s0, s11
	s_mul_hi_u32 s8, s0, s10
	s_add_i32 s5, s8, s5
	s_mul_i32 s1, s1, s10
	s_mul_i32 s0, s0, s10
	s_add_i32 s1, s5, s1
	s_lshl_b64 s[0:1], s[0:1], 1
	s_add_u32 s8, s16, s0
	s_addc_u32 s9, s17, s1
	s_ashr_i32 s0, s23, 31
	s_mul_i32 s1, s23, s15
	s_mul_hi_u32 s5, s23, s14
	s_add_i32 s1, s5, s1
	s_mul_i32 s0, s0, s14
	s_add_i32 s1, s1, s0
	s_mul_i32 s0, s23, s14
	s_lshl_b64 s[0:1], s[0:1], 1
	s_add_u32 s5, s18, s0
	s_addc_u32 s29, s19, s1
	s_ashr_i32 s0, s22, 31
	s_mul_i32 s1, s22, s13
	s_add_i32 s1, s27, s1
	s_mul_i32 s0, s0, s12
	s_add_i32 s1, s1, s0
	s_mul_i32 s0, s22, s12
	s_lshl_b64 s[0:1], s[0:1], 1
	s_add_u32 s27, s8, s0
	s_addc_u32 s0, s9, s1
	s_and_b32 s28, s28, 0xffff
	s_mov_b64 s[8:9], 0
	v_mov_b32_e32 v1, s0
	v_mov_b32_e32 v4, s29
.LBB47_8:                               ;   Parent Loop BB47_6 Depth=1
                                        ; =>  This Inner Loop Header: Depth=2
	v_ashrrev_i32_e32 v3, 31, v2
	v_lshlrev_b64 v[6:7], 1, v[2:3]
	v_add_co_u32_e64 v8, s[0:1], s27, v6
	v_addc_co_u32_e64 v9, s[0:1], v1, v7, s[0:1]
	global_load_ushort v3, v[8:9], off
	v_add_co_u32_e64 v6, s[0:1], s5, v6
	v_addc_co_u32_e64 v7, s[0:1], v4, v7, s[0:1]
	v_add_u32_e32 v2, s28, v2
	v_cmp_le_i32_e64 s[0:1], s21, v2
	s_or_b64 s[8:9], s[0:1], s[8:9]
	s_waitcnt vmcnt(0)
	global_store_short v[6:7], v3, off
	s_andn2_b64 exec, exec, s[8:9]
	s_cbranch_execnz .LBB47_8
	s_branch .LBB47_5
.LBB47_9:
	s_endpgm
	.section	.rodata,"a",@progbits
	.p2align	6, 0x0
	.amdhsa_kernel _ZN4vllm15cp_gather_cacheItEEvPKT_PS1_PKiS6_iillllS6_
		.amdhsa_group_segment_fixed_size 0
		.amdhsa_private_segment_fixed_size 0
		.amdhsa_kernarg_size 336
		.amdhsa_user_sgpr_count 6
		.amdhsa_user_sgpr_private_segment_buffer 1
		.amdhsa_user_sgpr_dispatch_ptr 0
		.amdhsa_user_sgpr_queue_ptr 0
		.amdhsa_user_sgpr_kernarg_segment_ptr 1
		.amdhsa_user_sgpr_dispatch_id 0
		.amdhsa_user_sgpr_flat_scratch_init 0
		.amdhsa_user_sgpr_kernarg_preload_length 0
		.amdhsa_user_sgpr_kernarg_preload_offset 0
		.amdhsa_user_sgpr_private_segment_size 0
		.amdhsa_uses_dynamic_stack 0
		.amdhsa_system_sgpr_private_segment_wavefront_offset 0
		.amdhsa_system_sgpr_workgroup_id_x 1
		.amdhsa_system_sgpr_workgroup_id_y 1
		.amdhsa_system_sgpr_workgroup_id_z 0
		.amdhsa_system_sgpr_workgroup_info 0
		.amdhsa_system_vgpr_workitem_id 0
		.amdhsa_next_free_vgpr 10
		.amdhsa_next_free_sgpr 30
		.amdhsa_accum_offset 12
		.amdhsa_reserve_vcc 1
		.amdhsa_reserve_flat_scratch 0
		.amdhsa_float_round_mode_32 0
		.amdhsa_float_round_mode_16_64 0
		.amdhsa_float_denorm_mode_32 3
		.amdhsa_float_denorm_mode_16_64 3
		.amdhsa_dx10_clamp 1
		.amdhsa_ieee_mode 1
		.amdhsa_fp16_overflow 0
		.amdhsa_tg_split 0
		.amdhsa_exception_fp_ieee_invalid_op 0
		.amdhsa_exception_fp_denorm_src 0
		.amdhsa_exception_fp_ieee_div_zero 0
		.amdhsa_exception_fp_ieee_overflow 0
		.amdhsa_exception_fp_ieee_underflow 0
		.amdhsa_exception_fp_ieee_inexact 0
		.amdhsa_exception_int_div_zero 0
	.end_amdhsa_kernel
	.section	.text._ZN4vllm15cp_gather_cacheItEEvPKT_PS1_PKiS6_iillllS6_,"axG",@progbits,_ZN4vllm15cp_gather_cacheItEEvPKT_PS1_PKiS6_iillllS6_,comdat
.Lfunc_end47:
	.size	_ZN4vllm15cp_gather_cacheItEEvPKT_PS1_PKiS6_iillllS6_, .Lfunc_end47-_ZN4vllm15cp_gather_cacheItEEvPKT_PS1_PKiS6_iillllS6_
                                        ; -- End function
	.section	.AMDGPU.csdata,"",@progbits
; Kernel info:
; codeLenInByte = 808
; NumSgprs: 34
; NumVgprs: 10
; NumAgprs: 0
; TotalNumVgprs: 10
; ScratchSize: 0
; MemoryBound: 0
; FloatMode: 240
; IeeeMode: 1
; LDSByteSize: 0 bytes/workgroup (compile time only)
; SGPRBlocks: 4
; VGPRBlocks: 1
; NumSGPRsForWavesPerEU: 34
; NumVGPRsForWavesPerEU: 10
; AccumOffset: 12
; Occupancy: 8
; WaveLimiterHint : 1
; COMPUTE_PGM_RSRC2:SCRATCH_EN: 0
; COMPUTE_PGM_RSRC2:USER_SGPR: 6
; COMPUTE_PGM_RSRC2:TRAP_HANDLER: 0
; COMPUTE_PGM_RSRC2:TGID_X_EN: 1
; COMPUTE_PGM_RSRC2:TGID_Y_EN: 1
; COMPUTE_PGM_RSRC2:TGID_Z_EN: 0
; COMPUTE_PGM_RSRC2:TIDIG_COMP_CNT: 0
; COMPUTE_PGM_RSRC3_GFX90A:ACCUM_OFFSET: 2
; COMPUTE_PGM_RSRC3_GFX90A:TG_SPLIT: 0
	.section	.text._ZN4vllm15cp_gather_cacheIhEEvPKT_PS1_PKiS6_iillllS6_,"axG",@progbits,_ZN4vllm15cp_gather_cacheIhEEvPKT_PS1_PKiS6_iillllS6_,comdat
	.protected	_ZN4vllm15cp_gather_cacheIhEEvPKT_PS1_PKiS6_iillllS6_ ; -- Begin function _ZN4vllm15cp_gather_cacheIhEEvPKT_PS1_PKiS6_iillllS6_
	.globl	_ZN4vllm15cp_gather_cacheIhEEvPKT_PS1_PKiS6_iillllS6_
	.p2align	8
	.type	_ZN4vllm15cp_gather_cacheIhEEvPKT_PS1_PKiS6_iillllS6_,@function
_ZN4vllm15cp_gather_cacheIhEEvPKT_PS1_PKiS6_iillllS6_: ; @_ZN4vllm15cp_gather_cacheIhEEvPKT_PS1_PKiS6_iillllS6_
; %bb.0:
	s_load_dwordx2 s[10:11], s[4:5], 0x18
	s_load_dword s1, s[4:5], 0x54
	s_mov_b32 s0, s7
	s_mov_b32 s7, 0
	s_add_u32 s2, s4, 0x50
	s_addc_u32 s3, s5, 0
	s_lshl_b64 s[8:9], s[6:7], 2
	s_waitcnt lgkmcnt(0)
	s_add_u32 s10, s10, s8
	s_addc_u32 s11, s11, s9
	s_abs_i32 s7, s1
	v_cvt_f32_u32_e32 v1, s7
	s_load_dwordx2 s[22:23], s[10:11], 0x0
	s_sub_i32 s12, 0, s7
	v_rcp_iflag_f32_e32 v1, v1
	s_waitcnt lgkmcnt(0)
	s_sub_i32 s10, s23, s22
	s_add_i32 s11, s1, s10
	v_mul_f32_e32 v1, 0x4f7ffffe, v1
	v_cvt_u32_f32_e32 v1, v1
	s_add_i32 s11, s11, -1
	s_xor_b32 s1, s11, s1
	s_abs_i32 s11, s11
	v_readfirstlane_b32 s13, v1
	s_mul_i32 s12, s12, s13
	s_mul_hi_u32 s12, s13, s12
	s_add_i32 s13, s13, s12
	s_mul_hi_u32 s12, s11, s13
	s_mul_i32 s13, s12, s7
	s_sub_i32 s11, s11, s13
	s_ashr_i32 s1, s1, 31
	s_add_i32 s13, s12, 1
	s_sub_i32 s14, s11, s7
	s_cmp_ge_u32 s11, s7
	s_cselect_b32 s12, s13, s12
	s_cselect_b32 s11, s14, s11
	s_add_i32 s13, s12, 1
	s_cmp_ge_u32 s11, s7
	s_cselect_b32 s7, s13, s12
	s_xor_b32 s7, s7, s1
	s_sub_i32 s11, s7, s1
	s_mul_i32 s23, s11, s0
	s_cmp_ge_i32 s23, s10
	s_cbranch_scc1 .LBB48_9
; %bb.1:
	s_load_dwordx2 s[0:1], s[4:5], 0x48
	s_mov_b32 s7, s23
	s_waitcnt lgkmcnt(0)
	s_cmp_eq_u64 s[0:1], 0
	s_cbranch_scc1 .LBB48_3
; %bb.2:
	s_add_u32 s0, s0, s8
	s_addc_u32 s1, s1, s9
	s_load_dword s0, s[0:1], 0x0
	s_waitcnt lgkmcnt(0)
	s_add_i32 s7, s0, s23
.LBB48_3:
	s_add_i32 s0, s23, s11
	s_min_i32 s24, s0, s10
	s_cmp_ge_i32 s23, s24
	s_cbranch_scc1 .LBB48_9
; %bb.4:
	s_load_dwordx8 s[8:15], s[4:5], 0x28
	s_load_dwordx4 s[16:19], s[4:5], 0x0
	s_load_dwordx2 s[0:1], s[4:5], 0x10
	s_load_dwordx2 s[20:21], s[4:5], 0x20
	s_waitcnt lgkmcnt(0)
	s_mul_i32 s4, s6, s8
	s_ashr_i32 s5, s4, 31
	s_lshl_b64 s[4:5], s[4:5], 2
	s_add_u32 s25, s0, s4
	s_addc_u32 s26, s1, s5
	s_ashr_i32 s0, s22, 31
	s_mul_i32 s1, s22, s15
	s_mul_hi_u32 s4, s22, s14
	s_add_i32 s1, s4, s1
	s_mul_i32 s0, s0, s14
	s_add_i32 s1, s1, s0
	s_mul_i32 s0, s22, s14
	s_add_u32 s18, s18, s0
	s_addc_u32 s19, s19, s1
	s_abs_i32 s0, s20
	v_cvt_f32_u32_e32 v1, s0
	s_sub_i32 s5, 0, s0
	s_abs_i32 s4, s7
	s_xor_b32 s1, s7, s20
	v_rcp_iflag_f32_e32 v1, v1
	s_ashr_i32 s1, s1, 31
	v_cmp_gt_i32_e32 vcc, s21, v0
	v_mul_f32_e32 v1, 0x4f7ffffe, v1
	v_cvt_u32_f32_e32 v1, v1
	v_readfirstlane_b32 s6, v1
	s_mul_i32 s5, s5, s6
	s_mul_hi_u32 s5, s6, s5
	s_add_i32 s6, s6, s5
	s_mul_hi_u32 s5, s4, s6
	s_mul_i32 s6, s5, s0
	s_sub_i32 s4, s4, s6
	s_add_i32 s6, s5, 1
	s_sub_i32 s8, s4, s0
	s_cmp_ge_u32 s4, s0
	s_cselect_b32 s5, s6, s5
	s_cselect_b32 s4, s8, s4
	s_add_i32 s6, s5, 1
	s_cmp_ge_u32 s4, s0
	s_cselect_b32 s0, s6, s5
	s_xor_b32 s0, s0, s1
	s_sub_i32 s4, s0, s1
	s_mul_i32 s0, s4, s20
	s_sub_i32 s22, s7, s0
	s_branch .LBB48_6
.LBB48_5:                               ;   in Loop: Header=BB48_6 Depth=1
	s_or_b64 exec, exec, s[6:7]
	s_add_i32 s5, s22, 1
	s_cmp_eq_u32 s5, s20
	s_cselect_b64 s[0:1], -1, 0
	s_and_b64 s[6:7], s[0:1], exec
	s_cselect_b32 s22, 0, s5
	s_cmp_lg_u64 s[0:1], 0
	s_addc_u32 s4, s4, 0
	s_add_i32 s23, s23, 1
	s_cmp_lt_i32 s23, s24
	s_cbranch_scc0 .LBB48_9
.LBB48_6:                               ; =>This Loop Header: Depth=1
                                        ;     Child Loop BB48_8 Depth 2
	s_and_saveexec_b64 s[6:7], vcc
	s_cbranch_execz .LBB48_5
; %bb.7:                                ;   in Loop: Header=BB48_6 Depth=1
	s_ashr_i32 s5, s4, 31
	s_lshl_b64 s[0:1], s[4:5], 2
	s_add_u32 s0, s25, s0
	s_addc_u32 s1, s26, s1
	s_load_dword s0, s[0:1], 0x0
	s_mul_hi_u32 s9, s23, s14
	s_mul_hi_u32 s27, s22, s12
	s_load_dword s28, s[2:3], 0xc
	v_mov_b32_e32 v3, v0
	s_waitcnt lgkmcnt(0)
	s_ashr_i32 s1, s0, 31
	s_mul_i32 s5, s0, s11
	s_mul_hi_u32 s8, s0, s10
	s_add_i32 s5, s8, s5
	s_mul_i32 s1, s1, s10
	s_mul_i32 s0, s0, s10
	s_add_i32 s5, s5, s1
	s_add_u32 s0, s16, s0
	s_addc_u32 s1, s17, s5
	s_ashr_i32 s5, s23, 31
	s_mul_i32 s8, s23, s15
	s_add_i32 s8, s9, s8
	s_mul_i32 s5, s5, s14
	s_add_i32 s8, s8, s5
	s_mul_i32 s5, s23, s14
	s_add_u32 s5, s18, s5
	s_addc_u32 s29, s19, s8
	s_ashr_i32 s8, s22, 31
	s_mul_i32 s9, s22, s13
	s_add_i32 s9, s27, s9
	s_mul_i32 s8, s8, s12
	s_add_i32 s9, s9, s8
	s_mul_i32 s8, s22, s12
	s_add_u32 s27, s0, s8
	s_addc_u32 s0, s1, s9
	s_and_b32 s28, s28, 0xffff
	s_mov_b64 s[8:9], 0
	v_mov_b32_e32 v1, s0
	v_mov_b32_e32 v2, s29
.LBB48_8:                               ;   Parent Loop BB48_6 Depth=1
                                        ; =>  This Inner Loop Header: Depth=2
	v_ashrrev_i32_e32 v6, 31, v3
	v_add_co_u32_e64 v4, s[0:1], s27, v3
	v_addc_co_u32_e64 v5, s[0:1], v1, v6, s[0:1]
	global_load_ubyte v7, v[4:5], off
	v_add_co_u32_e64 v4, s[0:1], s5, v3
	v_add_u32_e32 v3, s28, v3
	v_addc_co_u32_e64 v5, s[0:1], v2, v6, s[0:1]
	v_cmp_le_i32_e64 s[0:1], s21, v3
	s_or_b64 s[8:9], s[0:1], s[8:9]
	s_waitcnt vmcnt(0)
	global_store_byte v[4:5], v7, off
	s_andn2_b64 exec, exec, s[8:9]
	s_cbranch_execnz .LBB48_8
	s_branch .LBB48_5
.LBB48_9:
	s_endpgm
	.section	.rodata,"a",@progbits
	.p2align	6, 0x0
	.amdhsa_kernel _ZN4vllm15cp_gather_cacheIhEEvPKT_PS1_PKiS6_iillllS6_
		.amdhsa_group_segment_fixed_size 0
		.amdhsa_private_segment_fixed_size 0
		.amdhsa_kernarg_size 336
		.amdhsa_user_sgpr_count 6
		.amdhsa_user_sgpr_private_segment_buffer 1
		.amdhsa_user_sgpr_dispatch_ptr 0
		.amdhsa_user_sgpr_queue_ptr 0
		.amdhsa_user_sgpr_kernarg_segment_ptr 1
		.amdhsa_user_sgpr_dispatch_id 0
		.amdhsa_user_sgpr_flat_scratch_init 0
		.amdhsa_user_sgpr_kernarg_preload_length 0
		.amdhsa_user_sgpr_kernarg_preload_offset 0
		.amdhsa_user_sgpr_private_segment_size 0
		.amdhsa_uses_dynamic_stack 0
		.amdhsa_system_sgpr_private_segment_wavefront_offset 0
		.amdhsa_system_sgpr_workgroup_id_x 1
		.amdhsa_system_sgpr_workgroup_id_y 1
		.amdhsa_system_sgpr_workgroup_id_z 0
		.amdhsa_system_sgpr_workgroup_info 0
		.amdhsa_system_vgpr_workitem_id 0
		.amdhsa_next_free_vgpr 8
		.amdhsa_next_free_sgpr 30
		.amdhsa_accum_offset 8
		.amdhsa_reserve_vcc 1
		.amdhsa_reserve_flat_scratch 0
		.amdhsa_float_round_mode_32 0
		.amdhsa_float_round_mode_16_64 0
		.amdhsa_float_denorm_mode_32 3
		.amdhsa_float_denorm_mode_16_64 3
		.amdhsa_dx10_clamp 1
		.amdhsa_ieee_mode 1
		.amdhsa_fp16_overflow 0
		.amdhsa_tg_split 0
		.amdhsa_exception_fp_ieee_invalid_op 0
		.amdhsa_exception_fp_denorm_src 0
		.amdhsa_exception_fp_ieee_div_zero 0
		.amdhsa_exception_fp_ieee_overflow 0
		.amdhsa_exception_fp_ieee_underflow 0
		.amdhsa_exception_fp_ieee_inexact 0
		.amdhsa_exception_int_div_zero 0
	.end_amdhsa_kernel
	.section	.text._ZN4vllm15cp_gather_cacheIhEEvPKT_PS1_PKiS6_iillllS6_,"axG",@progbits,_ZN4vllm15cp_gather_cacheIhEEvPKT_PS1_PKiS6_iillllS6_,comdat
.Lfunc_end48:
	.size	_ZN4vllm15cp_gather_cacheIhEEvPKT_PS1_PKiS6_iillllS6_, .Lfunc_end48-_ZN4vllm15cp_gather_cacheIhEEvPKT_PS1_PKiS6_iillllS6_
                                        ; -- End function
	.section	.AMDGPU.csdata,"",@progbits
; Kernel info:
; codeLenInByte = 784
; NumSgprs: 34
; NumVgprs: 8
; NumAgprs: 0
; TotalNumVgprs: 8
; ScratchSize: 0
; MemoryBound: 0
; FloatMode: 240
; IeeeMode: 1
; LDSByteSize: 0 bytes/workgroup (compile time only)
; SGPRBlocks: 4
; VGPRBlocks: 0
; NumSGPRsForWavesPerEU: 34
; NumVGPRsForWavesPerEU: 8
; AccumOffset: 8
; Occupancy: 8
; WaveLimiterHint : 1
; COMPUTE_PGM_RSRC2:SCRATCH_EN: 0
; COMPUTE_PGM_RSRC2:USER_SGPR: 6
; COMPUTE_PGM_RSRC2:TRAP_HANDLER: 0
; COMPUTE_PGM_RSRC2:TGID_X_EN: 1
; COMPUTE_PGM_RSRC2:TGID_Y_EN: 1
; COMPUTE_PGM_RSRC2:TGID_Z_EN: 0
; COMPUTE_PGM_RSRC2:TIDIG_COMP_CNT: 0
; COMPUTE_PGM_RSRC3_GFX90A:ACCUM_OFFSET: 1
; COMPUTE_PGM_RSRC3_GFX90A:TG_SPLIT: 0
	.text
	.p2alignl 6, 3212836864
	.fill 256, 4, 3212836864
	.type	__const.__assert_fail.fmt,@object ; @__const.__assert_fail.fmt
	.section	.rodata.str1.16,"aMS",@progbits,1
	.p2align	4, 0x0
__const.__assert_fail.fmt:
	.asciz	"%s:%u: %s: Device-side assertion `%s' failed.\n"
	.size	__const.__assert_fail.fmt, 47

	.type	.str,@object                    ; @.str
	.section	.rodata.str1.1,"aMS",@progbits,1
.str:
	.asciz	"false"
	.size	.str, 6

	.type	.str.1,@object                  ; @.str.1
.str.1:
	.asciz	"/root/src/amdgpu-assembly/repos/ROCm__vllm/csrc/quantization/fp8/amd/quant_utils_hip.cuh"
	.size	.str.1, 89

	.type	__PRETTY_FUNCTION__._ZN4vllm3fp814scaled_convertIhfLNS_18Fp8KVCacheDataTypeE0EEET_RKT0_f,@object ; @__PRETTY_FUNCTION__._ZN4vllm3fp814scaled_convertIhfLNS_18Fp8KVCacheDataTypeE0EEET_RKT0_f
__PRETTY_FUNCTION__._ZN4vllm3fp814scaled_convertIhfLNS_18Fp8KVCacheDataTypeE0EEET_RKT0_f:
	.asciz	"Tout vllm::fp8::scaled_convert(const Tin &, const float) [Tout = unsigned char, Tin = float, kv_dt = vllm::Fp8KVCacheDataType::kAuto]"
	.size	__PRETTY_FUNCTION__._ZN4vllm3fp814scaled_convertIhfLNS_18Fp8KVCacheDataTypeE0EEET_RKT0_f, 134

	.type	__PRETTY_FUNCTION__._ZN4vllm3fp814scaled_convertIhtLNS_18Fp8KVCacheDataTypeE0EEET_RKT0_f,@object ; @__PRETTY_FUNCTION__._ZN4vllm3fp814scaled_convertIhtLNS_18Fp8KVCacheDataTypeE0EEET_RKT0_f
__PRETTY_FUNCTION__._ZN4vllm3fp814scaled_convertIhtLNS_18Fp8KVCacheDataTypeE0EEET_RKT0_f:
	.asciz	"Tout vllm::fp8::scaled_convert(const Tin &, const float) [Tout = unsigned char, Tin = unsigned short, kv_dt = vllm::Fp8KVCacheDataType::kAuto]"
	.size	__PRETTY_FUNCTION__._ZN4vllm3fp814scaled_convertIhtLNS_18Fp8KVCacheDataTypeE0EEET_RKT0_f, 143

	.type	__PRETTY_FUNCTION__._ZN4vllm3fp814scaled_convertIh14__hip_bfloat16LNS_18Fp8KVCacheDataTypeE0EEET_RKT0_f,@object ; @__PRETTY_FUNCTION__._ZN4vllm3fp814scaled_convertIh14__hip_bfloat16LNS_18Fp8KVCacheDataTypeE0EEET_RKT0_f
__PRETTY_FUNCTION__._ZN4vllm3fp814scaled_convertIh14__hip_bfloat16LNS_18Fp8KVCacheDataTypeE0EEET_RKT0_f:
	.asciz	"Tout vllm::fp8::scaled_convert(const Tin &, const float) [Tout = unsigned char, Tin = __hip_bfloat16, kv_dt = vllm::Fp8KVCacheDataType::kAuto]"
	.size	__PRETTY_FUNCTION__._ZN4vllm3fp814scaled_convertIh14__hip_bfloat16LNS_18Fp8KVCacheDataTypeE0EEET_RKT0_f, 143

	.type	__PRETTY_FUNCTION__._ZN4vllm3fp814scaled_convertIfhLNS_18Fp8KVCacheDataTypeE0EEET_RKT0_f,@object ; @__PRETTY_FUNCTION__._ZN4vllm3fp814scaled_convertIfhLNS_18Fp8KVCacheDataTypeE0EEET_RKT0_f
__PRETTY_FUNCTION__._ZN4vllm3fp814scaled_convertIfhLNS_18Fp8KVCacheDataTypeE0EEET_RKT0_f:
	.asciz	"Tout vllm::fp8::scaled_convert(const Tin &, const float) [Tout = float, Tin = unsigned char, kv_dt = vllm::Fp8KVCacheDataType::kAuto]"
	.size	__PRETTY_FUNCTION__._ZN4vllm3fp814scaled_convertIfhLNS_18Fp8KVCacheDataTypeE0EEET_RKT0_f, 134

	.type	__PRETTY_FUNCTION__._ZN4vllm3fp814scaled_convertIthLNS_18Fp8KVCacheDataTypeE0EEET_RKT0_f,@object ; @__PRETTY_FUNCTION__._ZN4vllm3fp814scaled_convertIthLNS_18Fp8KVCacheDataTypeE0EEET_RKT0_f
__PRETTY_FUNCTION__._ZN4vllm3fp814scaled_convertIthLNS_18Fp8KVCacheDataTypeE0EEET_RKT0_f:
	.asciz	"Tout vllm::fp8::scaled_convert(const Tin &, const float) [Tout = unsigned short, Tin = unsigned char, kv_dt = vllm::Fp8KVCacheDataType::kAuto]"
	.size	__PRETTY_FUNCTION__._ZN4vllm3fp814scaled_convertIthLNS_18Fp8KVCacheDataTypeE0EEET_RKT0_f, 143

	.type	__PRETTY_FUNCTION__._ZN4vllm3fp814scaled_convertI14__hip_bfloat16hLNS_18Fp8KVCacheDataTypeE0EEET_RKT0_f,@object ; @__PRETTY_FUNCTION__._ZN4vllm3fp814scaled_convertI14__hip_bfloat16hLNS_18Fp8KVCacheDataTypeE0EEET_RKT0_f
__PRETTY_FUNCTION__._ZN4vllm3fp814scaled_convertI14__hip_bfloat16hLNS_18Fp8KVCacheDataTypeE0EEET_RKT0_f:
	.asciz	"Tout vllm::fp8::scaled_convert(const Tin &, const float) [Tout = __hip_bfloat16, Tin = unsigned char, kv_dt = vllm::Fp8KVCacheDataType::kAuto]"
	.size	__PRETTY_FUNCTION__._ZN4vllm3fp814scaled_convertI14__hip_bfloat16hLNS_18Fp8KVCacheDataTypeE0EEET_RKT0_f, 143

	.type	__hip_cuid_35097c27982b75f1,@object ; @__hip_cuid_35097c27982b75f1
	.section	.bss,"aw",@nobits
	.globl	__hip_cuid_35097c27982b75f1
__hip_cuid_35097c27982b75f1:
	.byte	0                               ; 0x0
	.size	__hip_cuid_35097c27982b75f1, 1

	.ident	"AMD clang version 19.0.0git (https://github.com/RadeonOpenCompute/llvm-project roc-6.4.0 25133 c7fe45cf4b819c5991fe208aaa96edf142730f1d)"
	.section	".note.GNU-stack","",@progbits
	.addrsig
	.addrsig_sym __hip_cuid_35097c27982b75f1
	.amdgpu_metadata
---
amdhsa.kernels:
  - .agpr_count:     0
    .args:
      - .address_space:  global
        .offset:         0
        .size:           8
        .value_kind:     global_buffer
      - .address_space:  global
        .offset:         8
        .size:           8
        .value_kind:     global_buffer
      - .actual_access:  read_only
        .address_space:  global
        .offset:         16
        .size:           8
        .value_kind:     global_buffer
      - .offset:         24
        .size:           4
        .value_kind:     by_value
      - .offset:         32
        .size:           4
        .value_kind:     hidden_block_count_x
      - .offset:         36
        .size:           4
        .value_kind:     hidden_block_count_y
      - .offset:         40
        .size:           4
        .value_kind:     hidden_block_count_z
      - .offset:         44
        .size:           2
        .value_kind:     hidden_group_size_x
      - .offset:         46
        .size:           2
        .value_kind:     hidden_group_size_y
      - .offset:         48
        .size:           2
        .value_kind:     hidden_group_size_z
      - .offset:         50
        .size:           2
        .value_kind:     hidden_remainder_x
      - .offset:         52
        .size:           2
        .value_kind:     hidden_remainder_y
      - .offset:         54
        .size:           2
        .value_kind:     hidden_remainder_z
      - .offset:         72
        .size:           8
        .value_kind:     hidden_global_offset_x
      - .offset:         80
        .size:           8
        .value_kind:     hidden_global_offset_y
      - .offset:         88
        .size:           8
        .value_kind:     hidden_global_offset_z
      - .offset:         96
        .size:           2
        .value_kind:     hidden_grid_dims
    .group_segment_fixed_size: 0
    .kernarg_segment_align: 8
    .kernarg_segment_size: 288
    .language:       OpenCL C
    .language_version:
      - 2
      - 0
    .max_flat_workgroup_size: 1024
    .name:           _ZN4vllm18copy_blocks_kernelIfEEvPlS1_PKli
    .private_segment_fixed_size: 0
    .sgpr_count:     24
    .sgpr_spill_count: 0
    .symbol:         _ZN4vllm18copy_blocks_kernelIfEEvPlS1_PKli.kd
    .uniform_work_group_size: 1
    .uses_dynamic_stack: false
    .vgpr_count:     10
    .vgpr_spill_count: 0
    .wavefront_size: 64
  - .agpr_count:     0
    .args:
      - .address_space:  global
        .offset:         0
        .size:           8
        .value_kind:     global_buffer
      - .address_space:  global
        .offset:         8
        .size:           8
        .value_kind:     global_buffer
      - .actual_access:  read_only
        .address_space:  global
        .offset:         16
        .size:           8
        .value_kind:     global_buffer
      - .offset:         24
        .size:           4
        .value_kind:     by_value
      - .offset:         32
        .size:           4
        .value_kind:     hidden_block_count_x
      - .offset:         36
        .size:           4
        .value_kind:     hidden_block_count_y
      - .offset:         40
        .size:           4
        .value_kind:     hidden_block_count_z
      - .offset:         44
        .size:           2
        .value_kind:     hidden_group_size_x
      - .offset:         46
        .size:           2
        .value_kind:     hidden_group_size_y
      - .offset:         48
        .size:           2
        .value_kind:     hidden_group_size_z
      - .offset:         50
        .size:           2
        .value_kind:     hidden_remainder_x
      - .offset:         52
        .size:           2
        .value_kind:     hidden_remainder_y
      - .offset:         54
        .size:           2
        .value_kind:     hidden_remainder_z
      - .offset:         72
        .size:           8
        .value_kind:     hidden_global_offset_x
      - .offset:         80
        .size:           8
        .value_kind:     hidden_global_offset_y
      - .offset:         88
        .size:           8
        .value_kind:     hidden_global_offset_z
      - .offset:         96
        .size:           2
        .value_kind:     hidden_grid_dims
    .group_segment_fixed_size: 0
    .kernarg_segment_align: 8
    .kernarg_segment_size: 288
    .language:       OpenCL C
    .language_version:
      - 2
      - 0
    .max_flat_workgroup_size: 1024
    .name:           _ZN4vllm18copy_blocks_kernelIN3c104HalfEEEvPlS3_PKli
    .private_segment_fixed_size: 0
    .sgpr_count:     24
    .sgpr_spill_count: 0
    .symbol:         _ZN4vllm18copy_blocks_kernelIN3c104HalfEEEvPlS3_PKli.kd
    .uniform_work_group_size: 1
    .uses_dynamic_stack: false
    .vgpr_count:     10
    .vgpr_spill_count: 0
    .wavefront_size: 64
  - .agpr_count:     0
    .args:
      - .address_space:  global
        .offset:         0
        .size:           8
        .value_kind:     global_buffer
      - .address_space:  global
        .offset:         8
        .size:           8
        .value_kind:     global_buffer
      - .actual_access:  read_only
        .address_space:  global
        .offset:         16
        .size:           8
        .value_kind:     global_buffer
      - .offset:         24
        .size:           4
        .value_kind:     by_value
      - .offset:         32
        .size:           4
        .value_kind:     hidden_block_count_x
      - .offset:         36
        .size:           4
        .value_kind:     hidden_block_count_y
      - .offset:         40
        .size:           4
        .value_kind:     hidden_block_count_z
      - .offset:         44
        .size:           2
        .value_kind:     hidden_group_size_x
      - .offset:         46
        .size:           2
        .value_kind:     hidden_group_size_y
      - .offset:         48
        .size:           2
        .value_kind:     hidden_group_size_z
      - .offset:         50
        .size:           2
        .value_kind:     hidden_remainder_x
      - .offset:         52
        .size:           2
        .value_kind:     hidden_remainder_y
      - .offset:         54
        .size:           2
        .value_kind:     hidden_remainder_z
      - .offset:         72
        .size:           8
        .value_kind:     hidden_global_offset_x
      - .offset:         80
        .size:           8
        .value_kind:     hidden_global_offset_y
      - .offset:         88
        .size:           8
        .value_kind:     hidden_global_offset_z
      - .offset:         96
        .size:           2
        .value_kind:     hidden_grid_dims
    .group_segment_fixed_size: 0
    .kernarg_segment_align: 8
    .kernarg_segment_size: 288
    .language:       OpenCL C
    .language_version:
      - 2
      - 0
    .max_flat_workgroup_size: 1024
    .name:           _ZN4vllm18copy_blocks_kernelIN3c108BFloat16EEEvPlS3_PKli
    .private_segment_fixed_size: 0
    .sgpr_count:     24
    .sgpr_spill_count: 0
    .symbol:         _ZN4vllm18copy_blocks_kernelIN3c108BFloat16EEEvPlS3_PKli.kd
    .uniform_work_group_size: 1
    .uses_dynamic_stack: false
    .vgpr_count:     10
    .vgpr_spill_count: 0
    .wavefront_size: 64
  - .agpr_count:     0
    .args:
      - .address_space:  global
        .offset:         0
        .size:           8
        .value_kind:     global_buffer
      - .address_space:  global
        .offset:         8
        .size:           8
        .value_kind:     global_buffer
      - .actual_access:  read_only
        .address_space:  global
        .offset:         16
        .size:           8
        .value_kind:     global_buffer
      - .offset:         24
        .size:           4
        .value_kind:     by_value
      - .offset:         32
        .size:           4
        .value_kind:     hidden_block_count_x
      - .offset:         36
        .size:           4
        .value_kind:     hidden_block_count_y
      - .offset:         40
        .size:           4
        .value_kind:     hidden_block_count_z
      - .offset:         44
        .size:           2
        .value_kind:     hidden_group_size_x
      - .offset:         46
        .size:           2
        .value_kind:     hidden_group_size_y
      - .offset:         48
        .size:           2
        .value_kind:     hidden_group_size_z
      - .offset:         50
        .size:           2
        .value_kind:     hidden_remainder_x
      - .offset:         52
        .size:           2
        .value_kind:     hidden_remainder_y
      - .offset:         54
        .size:           2
        .value_kind:     hidden_remainder_z
      - .offset:         72
        .size:           8
        .value_kind:     hidden_global_offset_x
      - .offset:         80
        .size:           8
        .value_kind:     hidden_global_offset_y
      - .offset:         88
        .size:           8
        .value_kind:     hidden_global_offset_z
      - .offset:         96
        .size:           2
        .value_kind:     hidden_grid_dims
    .group_segment_fixed_size: 0
    .kernarg_segment_align: 8
    .kernarg_segment_size: 288
    .language:       OpenCL C
    .language_version:
      - 2
      - 0
    .max_flat_workgroup_size: 1024
    .name:           _ZN4vllm18copy_blocks_kernelIhEEvPlS1_PKli
    .private_segment_fixed_size: 0
    .sgpr_count:     24
    .sgpr_spill_count: 0
    .symbol:         _ZN4vllm18copy_blocks_kernelIhEEvPlS1_PKli.kd
    .uniform_work_group_size: 1
    .uses_dynamic_stack: false
    .vgpr_count:     8
    .vgpr_spill_count: 0
    .wavefront_size: 64
  - .agpr_count:     0
    .args:
      - .address_space:  global
        .offset:         0
        .size:           8
        .value_kind:     global_buffer
      - .actual_access:  read_only
        .address_space:  global
        .offset:         8
        .size:           8
        .value_kind:     global_buffer
      - .offset:         16
        .size:           4
        .value_kind:     by_value
      - .offset:         24
        .size:           4
        .value_kind:     hidden_block_count_x
      - .offset:         28
        .size:           4
        .value_kind:     hidden_block_count_y
      - .offset:         32
        .size:           4
        .value_kind:     hidden_block_count_z
      - .offset:         36
        .size:           2
        .value_kind:     hidden_group_size_x
      - .offset:         38
        .size:           2
        .value_kind:     hidden_group_size_y
      - .offset:         40
        .size:           2
        .value_kind:     hidden_group_size_z
      - .offset:         42
        .size:           2
        .value_kind:     hidden_remainder_x
      - .offset:         44
        .size:           2
        .value_kind:     hidden_remainder_y
      - .offset:         46
        .size:           2
        .value_kind:     hidden_remainder_z
      - .offset:         64
        .size:           8
        .value_kind:     hidden_global_offset_x
      - .offset:         72
        .size:           8
        .value_kind:     hidden_global_offset_y
      - .offset:         80
        .size:           8
        .value_kind:     hidden_global_offset_z
      - .offset:         88
        .size:           2
        .value_kind:     hidden_grid_dims
    .group_segment_fixed_size: 0
    .kernarg_segment_align: 8
    .kernarg_segment_size: 280
    .language:       OpenCL C
    .language_version:
      - 2
      - 0
    .max_flat_workgroup_size: 1024
    .name:           _ZN4vllm22copy_blocks_mla_kernelIfEEvPlPKli
    .private_segment_fixed_size: 0
    .sgpr_count:     20
    .sgpr_spill_count: 0
    .symbol:         _ZN4vllm22copy_blocks_mla_kernelIfEEvPlPKli.kd
    .uniform_work_group_size: 1
    .uses_dynamic_stack: false
    .vgpr_count:     8
    .vgpr_spill_count: 0
    .wavefront_size: 64
  - .agpr_count:     0
    .args:
      - .address_space:  global
        .offset:         0
        .size:           8
        .value_kind:     global_buffer
      - .actual_access:  read_only
        .address_space:  global
        .offset:         8
        .size:           8
        .value_kind:     global_buffer
      - .offset:         16
        .size:           4
        .value_kind:     by_value
      - .offset:         24
        .size:           4
        .value_kind:     hidden_block_count_x
      - .offset:         28
        .size:           4
        .value_kind:     hidden_block_count_y
      - .offset:         32
        .size:           4
        .value_kind:     hidden_block_count_z
      - .offset:         36
        .size:           2
        .value_kind:     hidden_group_size_x
      - .offset:         38
        .size:           2
        .value_kind:     hidden_group_size_y
      - .offset:         40
        .size:           2
        .value_kind:     hidden_group_size_z
      - .offset:         42
        .size:           2
        .value_kind:     hidden_remainder_x
      - .offset:         44
        .size:           2
        .value_kind:     hidden_remainder_y
      - .offset:         46
        .size:           2
        .value_kind:     hidden_remainder_z
      - .offset:         64
        .size:           8
        .value_kind:     hidden_global_offset_x
      - .offset:         72
        .size:           8
        .value_kind:     hidden_global_offset_y
      - .offset:         80
        .size:           8
        .value_kind:     hidden_global_offset_z
      - .offset:         88
        .size:           2
        .value_kind:     hidden_grid_dims
    .group_segment_fixed_size: 0
    .kernarg_segment_align: 8
    .kernarg_segment_size: 280
    .language:       OpenCL C
    .language_version:
      - 2
      - 0
    .max_flat_workgroup_size: 1024
    .name:           _ZN4vllm22copy_blocks_mla_kernelIN3c104HalfEEEvPlPKli
    .private_segment_fixed_size: 0
    .sgpr_count:     20
    .sgpr_spill_count: 0
    .symbol:         _ZN4vllm22copy_blocks_mla_kernelIN3c104HalfEEEvPlPKli.kd
    .uniform_work_group_size: 1
    .uses_dynamic_stack: false
    .vgpr_count:     8
    .vgpr_spill_count: 0
    .wavefront_size: 64
  - .agpr_count:     0
    .args:
      - .address_space:  global
        .offset:         0
        .size:           8
        .value_kind:     global_buffer
      - .actual_access:  read_only
        .address_space:  global
        .offset:         8
        .size:           8
        .value_kind:     global_buffer
      - .offset:         16
        .size:           4
        .value_kind:     by_value
      - .offset:         24
        .size:           4
        .value_kind:     hidden_block_count_x
      - .offset:         28
        .size:           4
        .value_kind:     hidden_block_count_y
      - .offset:         32
        .size:           4
        .value_kind:     hidden_block_count_z
      - .offset:         36
        .size:           2
        .value_kind:     hidden_group_size_x
      - .offset:         38
        .size:           2
        .value_kind:     hidden_group_size_y
      - .offset:         40
        .size:           2
        .value_kind:     hidden_group_size_z
      - .offset:         42
        .size:           2
        .value_kind:     hidden_remainder_x
      - .offset:         44
        .size:           2
        .value_kind:     hidden_remainder_y
      - .offset:         46
        .size:           2
        .value_kind:     hidden_remainder_z
      - .offset:         64
        .size:           8
        .value_kind:     hidden_global_offset_x
      - .offset:         72
        .size:           8
        .value_kind:     hidden_global_offset_y
      - .offset:         80
        .size:           8
        .value_kind:     hidden_global_offset_z
      - .offset:         88
        .size:           2
        .value_kind:     hidden_grid_dims
    .group_segment_fixed_size: 0
    .kernarg_segment_align: 8
    .kernarg_segment_size: 280
    .language:       OpenCL C
    .language_version:
      - 2
      - 0
    .max_flat_workgroup_size: 1024
    .name:           _ZN4vllm22copy_blocks_mla_kernelIN3c108BFloat16EEEvPlPKli
    .private_segment_fixed_size: 0
    .sgpr_count:     20
    .sgpr_spill_count: 0
    .symbol:         _ZN4vllm22copy_blocks_mla_kernelIN3c108BFloat16EEEvPlPKli.kd
    .uniform_work_group_size: 1
    .uses_dynamic_stack: false
    .vgpr_count:     8
    .vgpr_spill_count: 0
    .wavefront_size: 64
  - .agpr_count:     0
    .args:
      - .address_space:  global
        .offset:         0
        .size:           8
        .value_kind:     global_buffer
      - .actual_access:  read_only
        .address_space:  global
        .offset:         8
        .size:           8
        .value_kind:     global_buffer
      - .offset:         16
        .size:           4
        .value_kind:     by_value
      - .offset:         24
        .size:           4
        .value_kind:     hidden_block_count_x
      - .offset:         28
        .size:           4
        .value_kind:     hidden_block_count_y
      - .offset:         32
        .size:           4
        .value_kind:     hidden_block_count_z
      - .offset:         36
        .size:           2
        .value_kind:     hidden_group_size_x
      - .offset:         38
        .size:           2
        .value_kind:     hidden_group_size_y
      - .offset:         40
        .size:           2
        .value_kind:     hidden_group_size_z
      - .offset:         42
        .size:           2
        .value_kind:     hidden_remainder_x
      - .offset:         44
        .size:           2
        .value_kind:     hidden_remainder_y
      - .offset:         46
        .size:           2
        .value_kind:     hidden_remainder_z
      - .offset:         64
        .size:           8
        .value_kind:     hidden_global_offset_x
      - .offset:         72
        .size:           8
        .value_kind:     hidden_global_offset_y
      - .offset:         80
        .size:           8
        .value_kind:     hidden_global_offset_z
      - .offset:         88
        .size:           2
        .value_kind:     hidden_grid_dims
    .group_segment_fixed_size: 0
    .kernarg_segment_align: 8
    .kernarg_segment_size: 280
    .language:       OpenCL C
    .language_version:
      - 2
      - 0
    .max_flat_workgroup_size: 1024
    .name:           _ZN4vllm22copy_blocks_mla_kernelIhEEvPlPKli
    .private_segment_fixed_size: 0
    .sgpr_count:     20
    .sgpr_spill_count: 0
    .symbol:         _ZN4vllm22copy_blocks_mla_kernelIhEEvPlPKli.kd
    .uniform_work_group_size: 1
    .uses_dynamic_stack: false
    .vgpr_count:     7
    .vgpr_spill_count: 0
    .wavefront_size: 64
  - .agpr_count:     0
    .args:
      - .actual_access:  read_only
        .address_space:  global
        .offset:         0
        .size:           8
        .value_kind:     global_buffer
      - .actual_access:  read_only
        .address_space:  global
        .offset:         8
        .size:           8
        .value_kind:     global_buffer
      - .actual_access:  write_only
        .address_space:  global
        .offset:         16
        .size:           8
        .value_kind:     global_buffer
      - .actual_access:  write_only
        .address_space:  global
        .offset:         24
        .size:           8
        .value_kind:     global_buffer
      - .actual_access:  read_only
        .address_space:  global
        .offset:         32
        .size:           8
        .value_kind:     global_buffer
      - .offset:         40
        .size:           4
        .value_kind:     by_value
      - .offset:         44
        .size:           4
        .value_kind:     by_value
      - .offset:         48
        .size:           4
        .value_kind:     by_value
      - .offset:         52
        .size:           4
        .value_kind:     by_value
      - .offset:         56
        .size:           4
        .value_kind:     by_value
      - .offset:         60
        .size:           4
        .value_kind:     by_value
      - .address_space:  global
        .offset:         64
        .size:           8
        .value_kind:     global_buffer
      - .address_space:  global
        .offset:         72
        .size:           8
        .value_kind:     global_buffer
      - .offset:         80
        .size:           4
        .value_kind:     hidden_block_count_x
      - .offset:         84
        .size:           4
        .value_kind:     hidden_block_count_y
      - .offset:         88
        .size:           4
        .value_kind:     hidden_block_count_z
      - .offset:         92
        .size:           2
        .value_kind:     hidden_group_size_x
      - .offset:         94
        .size:           2
        .value_kind:     hidden_group_size_y
      - .offset:         96
        .size:           2
        .value_kind:     hidden_group_size_z
      - .offset:         98
        .size:           2
        .value_kind:     hidden_remainder_x
      - .offset:         100
        .size:           2
        .value_kind:     hidden_remainder_y
      - .offset:         102
        .size:           2
        .value_kind:     hidden_remainder_z
      - .offset:         120
        .size:           8
        .value_kind:     hidden_global_offset_x
      - .offset:         128
        .size:           8
        .value_kind:     hidden_global_offset_y
      - .offset:         136
        .size:           8
        .value_kind:     hidden_global_offset_z
      - .offset:         144
        .size:           2
        .value_kind:     hidden_grid_dims
    .group_segment_fixed_size: 0
    .kernarg_segment_align: 8
    .kernarg_segment_size: 336
    .language:       OpenCL C
    .language_version:
      - 2
      - 0
    .max_flat_workgroup_size: 1024
    .name:           _ZN4vllm24reshape_and_cache_kernelIffLNS_18Fp8KVCacheDataTypeE0EEEvPKT_S4_PT0_S6_PKliiiiiiPKfSA_
    .private_segment_fixed_size: 0
    .sgpr_count:     40
    .sgpr_spill_count: 0
    .symbol:         _ZN4vllm24reshape_and_cache_kernelIffLNS_18Fp8KVCacheDataTypeE0EEEvPKT_S4_PT0_S6_PKliiiiiiPKfSA_.kd
    .uniform_work_group_size: 1
    .uses_dynamic_stack: false
    .vgpr_count:     22
    .vgpr_spill_count: 0
    .wavefront_size: 64
  - .agpr_count:     0
    .args:
      - .actual_access:  read_only
        .address_space:  global
        .offset:         0
        .size:           8
        .value_kind:     global_buffer
      - .actual_access:  read_only
        .address_space:  global
        .offset:         8
        .size:           8
        .value_kind:     global_buffer
      - .actual_access:  write_only
        .address_space:  global
        .offset:         16
        .size:           8
        .value_kind:     global_buffer
      - .actual_access:  write_only
        .address_space:  global
        .offset:         24
        .size:           8
        .value_kind:     global_buffer
      - .actual_access:  read_only
        .address_space:  global
        .offset:         32
        .size:           8
        .value_kind:     global_buffer
      - .offset:         40
        .size:           4
        .value_kind:     by_value
      - .offset:         44
        .size:           4
        .value_kind:     by_value
      - .offset:         48
        .size:           4
        .value_kind:     by_value
      - .offset:         52
        .size:           4
        .value_kind:     by_value
      - .offset:         56
        .size:           4
        .value_kind:     by_value
      - .offset:         60
        .size:           4
        .value_kind:     by_value
      - .address_space:  global
        .offset:         64
        .size:           8
        .value_kind:     global_buffer
      - .address_space:  global
        .offset:         72
        .size:           8
        .value_kind:     global_buffer
      - .offset:         80
        .size:           4
        .value_kind:     hidden_block_count_x
      - .offset:         84
        .size:           4
        .value_kind:     hidden_block_count_y
      - .offset:         88
        .size:           4
        .value_kind:     hidden_block_count_z
      - .offset:         92
        .size:           2
        .value_kind:     hidden_group_size_x
      - .offset:         94
        .size:           2
        .value_kind:     hidden_group_size_y
      - .offset:         96
        .size:           2
        .value_kind:     hidden_group_size_z
      - .offset:         98
        .size:           2
        .value_kind:     hidden_remainder_x
      - .offset:         100
        .size:           2
        .value_kind:     hidden_remainder_y
      - .offset:         102
        .size:           2
        .value_kind:     hidden_remainder_z
      - .offset:         120
        .size:           8
        .value_kind:     hidden_global_offset_x
      - .offset:         128
        .size:           8
        .value_kind:     hidden_global_offset_y
      - .offset:         136
        .size:           8
        .value_kind:     hidden_global_offset_z
      - .offset:         144
        .size:           2
        .value_kind:     hidden_grid_dims
    .group_segment_fixed_size: 0
    .kernarg_segment_align: 8
    .kernarg_segment_size: 336
    .language:       OpenCL C
    .language_version:
      - 2
      - 0
    .max_flat_workgroup_size: 1024
    .name:           _ZN4vllm24reshape_and_cache_kernelIttLNS_18Fp8KVCacheDataTypeE0EEEvPKT_S4_PT0_S6_PKliiiiiiPKfSA_
    .private_segment_fixed_size: 0
    .sgpr_count:     40
    .sgpr_spill_count: 0
    .symbol:         _ZN4vllm24reshape_and_cache_kernelIttLNS_18Fp8KVCacheDataTypeE0EEEvPKT_S4_PT0_S6_PKliiiiiiPKfSA_.kd
    .uniform_work_group_size: 1
    .uses_dynamic_stack: false
    .vgpr_count:     22
    .vgpr_spill_count: 0
    .wavefront_size: 64
  - .agpr_count:     0
    .args:
      - .actual_access:  read_only
        .address_space:  global
        .offset:         0
        .size:           8
        .value_kind:     global_buffer
      - .actual_access:  read_only
        .address_space:  global
        .offset:         8
        .size:           8
        .value_kind:     global_buffer
      - .actual_access:  write_only
        .address_space:  global
        .offset:         16
        .size:           8
        .value_kind:     global_buffer
      - .actual_access:  write_only
        .address_space:  global
        .offset:         24
        .size:           8
        .value_kind:     global_buffer
      - .actual_access:  read_only
        .address_space:  global
        .offset:         32
        .size:           8
        .value_kind:     global_buffer
      - .offset:         40
        .size:           4
        .value_kind:     by_value
      - .offset:         44
        .size:           4
        .value_kind:     by_value
      - .offset:         48
        .size:           4
        .value_kind:     by_value
      - .offset:         52
        .size:           4
        .value_kind:     by_value
      - .offset:         56
        .size:           4
        .value_kind:     by_value
      - .offset:         60
        .size:           4
        .value_kind:     by_value
      - .address_space:  global
        .offset:         64
        .size:           8
        .value_kind:     global_buffer
      - .address_space:  global
        .offset:         72
        .size:           8
        .value_kind:     global_buffer
      - .offset:         80
        .size:           4
        .value_kind:     hidden_block_count_x
      - .offset:         84
        .size:           4
        .value_kind:     hidden_block_count_y
      - .offset:         88
        .size:           4
        .value_kind:     hidden_block_count_z
      - .offset:         92
        .size:           2
        .value_kind:     hidden_group_size_x
      - .offset:         94
        .size:           2
        .value_kind:     hidden_group_size_y
      - .offset:         96
        .size:           2
        .value_kind:     hidden_group_size_z
      - .offset:         98
        .size:           2
        .value_kind:     hidden_remainder_x
      - .offset:         100
        .size:           2
        .value_kind:     hidden_remainder_y
      - .offset:         102
        .size:           2
        .value_kind:     hidden_remainder_z
      - .offset:         120
        .size:           8
        .value_kind:     hidden_global_offset_x
      - .offset:         128
        .size:           8
        .value_kind:     hidden_global_offset_y
      - .offset:         136
        .size:           8
        .value_kind:     hidden_global_offset_z
      - .offset:         144
        .size:           2
        .value_kind:     hidden_grid_dims
    .group_segment_fixed_size: 0
    .kernarg_segment_align: 8
    .kernarg_segment_size: 336
    .language:       OpenCL C
    .language_version:
      - 2
      - 0
    .max_flat_workgroup_size: 1024
    .name:           _ZN4vllm24reshape_and_cache_kernelI14__hip_bfloat16S1_LNS_18Fp8KVCacheDataTypeE0EEEvPKT_S5_PT0_S7_PKliiiiiiPKfSB_
    .private_segment_fixed_size: 0
    .sgpr_count:     40
    .sgpr_spill_count: 0
    .symbol:         _ZN4vllm24reshape_and_cache_kernelI14__hip_bfloat16S1_LNS_18Fp8KVCacheDataTypeE0EEEvPKT_S5_PT0_S7_PKliiiiiiPKfSB_.kd
    .uniform_work_group_size: 1
    .uses_dynamic_stack: false
    .vgpr_count:     22
    .vgpr_spill_count: 0
    .wavefront_size: 64
  - .agpr_count:     0
    .args:
      - .actual_access:  read_only
        .address_space:  global
        .offset:         0
        .size:           8
        .value_kind:     global_buffer
      - .actual_access:  read_only
        .address_space:  global
        .offset:         8
        .size:           8
        .value_kind:     global_buffer
      - .actual_access:  write_only
        .address_space:  global
        .offset:         16
        .size:           8
        .value_kind:     global_buffer
      - .actual_access:  write_only
        .address_space:  global
        .offset:         24
        .size:           8
        .value_kind:     global_buffer
      - .actual_access:  read_only
        .address_space:  global
        .offset:         32
        .size:           8
        .value_kind:     global_buffer
      - .offset:         40
        .size:           4
        .value_kind:     by_value
      - .offset:         44
        .size:           4
        .value_kind:     by_value
      - .offset:         48
        .size:           4
        .value_kind:     by_value
      - .offset:         52
        .size:           4
        .value_kind:     by_value
      - .offset:         56
        .size:           4
        .value_kind:     by_value
      - .offset:         60
        .size:           4
        .value_kind:     by_value
      - .address_space:  global
        .offset:         64
        .size:           8
        .value_kind:     global_buffer
      - .address_space:  global
        .offset:         72
        .size:           8
        .value_kind:     global_buffer
      - .offset:         80
        .size:           4
        .value_kind:     hidden_block_count_x
      - .offset:         84
        .size:           4
        .value_kind:     hidden_block_count_y
      - .offset:         88
        .size:           4
        .value_kind:     hidden_block_count_z
      - .offset:         92
        .size:           2
        .value_kind:     hidden_group_size_x
      - .offset:         94
        .size:           2
        .value_kind:     hidden_group_size_y
      - .offset:         96
        .size:           2
        .value_kind:     hidden_group_size_z
      - .offset:         98
        .size:           2
        .value_kind:     hidden_remainder_x
      - .offset:         100
        .size:           2
        .value_kind:     hidden_remainder_y
      - .offset:         102
        .size:           2
        .value_kind:     hidden_remainder_z
      - .offset:         120
        .size:           8
        .value_kind:     hidden_global_offset_x
      - .offset:         128
        .size:           8
        .value_kind:     hidden_global_offset_y
      - .offset:         136
        .size:           8
        .value_kind:     hidden_global_offset_z
      - .offset:         144
        .size:           2
        .value_kind:     hidden_grid_dims
    .group_segment_fixed_size: 0
    .kernarg_segment_align: 8
    .kernarg_segment_size: 336
    .language:       OpenCL C
    .language_version:
      - 2
      - 0
    .max_flat_workgroup_size: 1024
    .name:           _ZN4vllm24reshape_and_cache_kernelIfhLNS_18Fp8KVCacheDataTypeE1EEEvPKT_S4_PT0_S6_PKliiiiiiPKfSA_
    .private_segment_fixed_size: 0
    .sgpr_count:     52
    .sgpr_spill_count: 0
    .symbol:         _ZN4vllm24reshape_and_cache_kernelIfhLNS_18Fp8KVCacheDataTypeE1EEEvPKT_S4_PT0_S6_PKliiiiiiPKfSA_.kd
    .uniform_work_group_size: 1
    .uses_dynamic_stack: false
    .vgpr_count:     20
    .vgpr_spill_count: 0
    .wavefront_size: 64
  - .agpr_count:     0
    .args:
      - .actual_access:  read_only
        .address_space:  global
        .offset:         0
        .size:           8
        .value_kind:     global_buffer
      - .actual_access:  read_only
        .address_space:  global
        .offset:         8
        .size:           8
        .value_kind:     global_buffer
      - .actual_access:  write_only
        .address_space:  global
        .offset:         16
        .size:           8
        .value_kind:     global_buffer
      - .actual_access:  write_only
        .address_space:  global
        .offset:         24
        .size:           8
        .value_kind:     global_buffer
      - .actual_access:  read_only
        .address_space:  global
        .offset:         32
        .size:           8
        .value_kind:     global_buffer
      - .offset:         40
        .size:           4
        .value_kind:     by_value
      - .offset:         44
        .size:           4
        .value_kind:     by_value
      - .offset:         48
        .size:           4
        .value_kind:     by_value
      - .offset:         52
        .size:           4
        .value_kind:     by_value
      - .offset:         56
        .size:           4
        .value_kind:     by_value
      - .offset:         60
        .size:           4
        .value_kind:     by_value
      - .address_space:  global
        .offset:         64
        .size:           8
        .value_kind:     global_buffer
      - .address_space:  global
        .offset:         72
        .size:           8
        .value_kind:     global_buffer
      - .offset:         80
        .size:           4
        .value_kind:     hidden_block_count_x
      - .offset:         84
        .size:           4
        .value_kind:     hidden_block_count_y
      - .offset:         88
        .size:           4
        .value_kind:     hidden_block_count_z
      - .offset:         92
        .size:           2
        .value_kind:     hidden_group_size_x
      - .offset:         94
        .size:           2
        .value_kind:     hidden_group_size_y
      - .offset:         96
        .size:           2
        .value_kind:     hidden_group_size_z
      - .offset:         98
        .size:           2
        .value_kind:     hidden_remainder_x
      - .offset:         100
        .size:           2
        .value_kind:     hidden_remainder_y
      - .offset:         102
        .size:           2
        .value_kind:     hidden_remainder_z
      - .offset:         120
        .size:           8
        .value_kind:     hidden_global_offset_x
      - .offset:         128
        .size:           8
        .value_kind:     hidden_global_offset_y
      - .offset:         136
        .size:           8
        .value_kind:     hidden_global_offset_z
      - .offset:         144
        .size:           2
        .value_kind:     hidden_grid_dims
    .group_segment_fixed_size: 0
    .kernarg_segment_align: 8
    .kernarg_segment_size: 336
    .language:       OpenCL C
    .language_version:
      - 2
      - 0
    .max_flat_workgroup_size: 1024
    .name:           _ZN4vllm24reshape_and_cache_kernelIthLNS_18Fp8KVCacheDataTypeE1EEEvPKT_S4_PT0_S6_PKliiiiiiPKfSA_
    .private_segment_fixed_size: 0
    .sgpr_count:     52
    .sgpr_spill_count: 0
    .symbol:         _ZN4vllm24reshape_and_cache_kernelIthLNS_18Fp8KVCacheDataTypeE1EEEvPKT_S4_PT0_S6_PKliiiiiiPKfSA_.kd
    .uniform_work_group_size: 1
    .uses_dynamic_stack: false
    .vgpr_count:     21
    .vgpr_spill_count: 0
    .wavefront_size: 64
  - .agpr_count:     0
    .args:
      - .actual_access:  read_only
        .address_space:  global
        .offset:         0
        .size:           8
        .value_kind:     global_buffer
      - .actual_access:  read_only
        .address_space:  global
        .offset:         8
        .size:           8
        .value_kind:     global_buffer
      - .actual_access:  write_only
        .address_space:  global
        .offset:         16
        .size:           8
        .value_kind:     global_buffer
      - .actual_access:  write_only
        .address_space:  global
        .offset:         24
        .size:           8
        .value_kind:     global_buffer
      - .actual_access:  read_only
        .address_space:  global
        .offset:         32
        .size:           8
        .value_kind:     global_buffer
      - .offset:         40
        .size:           4
        .value_kind:     by_value
      - .offset:         44
        .size:           4
        .value_kind:     by_value
      - .offset:         48
        .size:           4
        .value_kind:     by_value
      - .offset:         52
        .size:           4
        .value_kind:     by_value
      - .offset:         56
        .size:           4
        .value_kind:     by_value
      - .offset:         60
        .size:           4
        .value_kind:     by_value
      - .address_space:  global
        .offset:         64
        .size:           8
        .value_kind:     global_buffer
      - .address_space:  global
        .offset:         72
        .size:           8
        .value_kind:     global_buffer
      - .offset:         80
        .size:           4
        .value_kind:     hidden_block_count_x
      - .offset:         84
        .size:           4
        .value_kind:     hidden_block_count_y
      - .offset:         88
        .size:           4
        .value_kind:     hidden_block_count_z
      - .offset:         92
        .size:           2
        .value_kind:     hidden_group_size_x
      - .offset:         94
        .size:           2
        .value_kind:     hidden_group_size_y
      - .offset:         96
        .size:           2
        .value_kind:     hidden_group_size_z
      - .offset:         98
        .size:           2
        .value_kind:     hidden_remainder_x
      - .offset:         100
        .size:           2
        .value_kind:     hidden_remainder_y
      - .offset:         102
        .size:           2
        .value_kind:     hidden_remainder_z
      - .offset:         120
        .size:           8
        .value_kind:     hidden_global_offset_x
      - .offset:         128
        .size:           8
        .value_kind:     hidden_global_offset_y
      - .offset:         136
        .size:           8
        .value_kind:     hidden_global_offset_z
      - .offset:         144
        .size:           2
        .value_kind:     hidden_grid_dims
    .group_segment_fixed_size: 0
    .kernarg_segment_align: 8
    .kernarg_segment_size: 336
    .language:       OpenCL C
    .language_version:
      - 2
      - 0
    .max_flat_workgroup_size: 1024
    .name:           _ZN4vllm24reshape_and_cache_kernelI14__hip_bfloat16hLNS_18Fp8KVCacheDataTypeE1EEEvPKT_S5_PT0_S7_PKliiiiiiPKfSB_
    .private_segment_fixed_size: 0
    .sgpr_count:     52
    .sgpr_spill_count: 0
    .symbol:         _ZN4vllm24reshape_and_cache_kernelI14__hip_bfloat16hLNS_18Fp8KVCacheDataTypeE1EEEvPKT_S5_PT0_S7_PKliiiiiiPKfSB_.kd
    .uniform_work_group_size: 1
    .uses_dynamic_stack: false
    .vgpr_count:     20
    .vgpr_spill_count: 0
    .wavefront_size: 64
  - .agpr_count:     0
    .args:
      - .address_space:  global
        .offset:         0
        .size:           8
        .value_kind:     global_buffer
      - .address_space:  global
        .offset:         8
        .size:           8
        .value_kind:     global_buffer
      - .actual_access:  write_only
        .address_space:  global
        .offset:         16
        .size:           8
        .value_kind:     global_buffer
      - .actual_access:  write_only
        .address_space:  global
        .offset:         24
        .size:           8
        .value_kind:     global_buffer
      - .actual_access:  read_only
        .address_space:  global
        .offset:         32
        .size:           8
        .value_kind:     global_buffer
      - .offset:         40
        .size:           8
        .value_kind:     by_value
      - .offset:         48
        .size:           8
        .value_kind:     by_value
      - .offset:         56
        .size:           8
        .value_kind:     by_value
      - .offset:         64
        .size:           8
        .value_kind:     by_value
      - .offset:         72
        .size:           8
        .value_kind:     by_value
      - .offset:         80
        .size:           4
        .value_kind:     by_value
      - .offset:         84
        .size:           4
        .value_kind:     by_value
      - .offset:         88
        .size:           4
        .value_kind:     by_value
      - .address_space:  global
        .offset:         96
        .size:           8
        .value_kind:     global_buffer
      - .address_space:  global
        .offset:         104
        .size:           8
        .value_kind:     global_buffer
      - .offset:         112
        .size:           4
        .value_kind:     hidden_block_count_x
      - .offset:         116
        .size:           4
        .value_kind:     hidden_block_count_y
      - .offset:         120
        .size:           4
        .value_kind:     hidden_block_count_z
      - .offset:         124
        .size:           2
        .value_kind:     hidden_group_size_x
      - .offset:         126
        .size:           2
        .value_kind:     hidden_group_size_y
      - .offset:         128
        .size:           2
        .value_kind:     hidden_group_size_z
      - .offset:         130
        .size:           2
        .value_kind:     hidden_remainder_x
      - .offset:         132
        .size:           2
        .value_kind:     hidden_remainder_y
      - .offset:         134
        .size:           2
        .value_kind:     hidden_remainder_z
      - .offset:         152
        .size:           8
        .value_kind:     hidden_global_offset_x
      - .offset:         160
        .size:           8
        .value_kind:     hidden_global_offset_y
      - .offset:         168
        .size:           8
        .value_kind:     hidden_global_offset_z
      - .offset:         176
        .size:           2
        .value_kind:     hidden_grid_dims
    .group_segment_fixed_size: 0
    .kernarg_segment_align: 8
    .kernarg_segment_size: 368
    .language:       OpenCL C
    .language_version:
      - 2
      - 0
    .max_flat_workgroup_size: 1024
    .name:           _ZN4vllm30reshape_and_cache_flash_kernelIffLNS_18Fp8KVCacheDataTypeE0EEEvPKT_S4_PT0_S6_PKlllllliiiPKfSA_
    .private_segment_fixed_size: 0
    .sgpr_count:     56
    .sgpr_spill_count: 0
    .symbol:         _ZN4vllm30reshape_and_cache_flash_kernelIffLNS_18Fp8KVCacheDataTypeE0EEEvPKT_S4_PT0_S6_PKlllllliiiPKfSA_.kd
    .uniform_work_group_size: 1
    .uses_dynamic_stack: false
    .vgpr_count:     58
    .vgpr_spill_count: 0
    .wavefront_size: 64
  - .agpr_count:     0
    .args:
      - .address_space:  global
        .offset:         0
        .size:           8
        .value_kind:     global_buffer
      - .address_space:  global
        .offset:         8
        .size:           8
        .value_kind:     global_buffer
      - .actual_access:  write_only
        .address_space:  global
        .offset:         16
        .size:           8
        .value_kind:     global_buffer
      - .actual_access:  write_only
        .address_space:  global
        .offset:         24
        .size:           8
        .value_kind:     global_buffer
      - .actual_access:  read_only
        .address_space:  global
        .offset:         32
        .size:           8
        .value_kind:     global_buffer
      - .offset:         40
        .size:           8
        .value_kind:     by_value
      - .offset:         48
        .size:           8
        .value_kind:     by_value
      - .offset:         56
        .size:           8
        .value_kind:     by_value
      - .offset:         64
        .size:           8
        .value_kind:     by_value
      - .offset:         72
        .size:           8
        .value_kind:     by_value
      - .offset:         80
        .size:           4
        .value_kind:     by_value
      - .offset:         84
        .size:           4
        .value_kind:     by_value
      - .offset:         88
        .size:           4
        .value_kind:     by_value
      - .address_space:  global
        .offset:         96
        .size:           8
        .value_kind:     global_buffer
      - .address_space:  global
        .offset:         104
        .size:           8
        .value_kind:     global_buffer
      - .offset:         112
        .size:           4
        .value_kind:     hidden_block_count_x
      - .offset:         116
        .size:           4
        .value_kind:     hidden_block_count_y
      - .offset:         120
        .size:           4
        .value_kind:     hidden_block_count_z
      - .offset:         124
        .size:           2
        .value_kind:     hidden_group_size_x
      - .offset:         126
        .size:           2
        .value_kind:     hidden_group_size_y
      - .offset:         128
        .size:           2
        .value_kind:     hidden_group_size_z
      - .offset:         130
        .size:           2
        .value_kind:     hidden_remainder_x
      - .offset:         132
        .size:           2
        .value_kind:     hidden_remainder_y
      - .offset:         134
        .size:           2
        .value_kind:     hidden_remainder_z
      - .offset:         152
        .size:           8
        .value_kind:     hidden_global_offset_x
      - .offset:         160
        .size:           8
        .value_kind:     hidden_global_offset_y
      - .offset:         168
        .size:           8
        .value_kind:     hidden_global_offset_z
      - .offset:         176
        .size:           2
        .value_kind:     hidden_grid_dims
    .group_segment_fixed_size: 0
    .kernarg_segment_align: 8
    .kernarg_segment_size: 368
    .language:       OpenCL C
    .language_version:
      - 2
      - 0
    .max_flat_workgroup_size: 1024
    .name:           _ZN4vllm30reshape_and_cache_flash_kernelIttLNS_18Fp8KVCacheDataTypeE0EEEvPKT_S4_PT0_S6_PKlllllliiiPKfSA_
    .private_segment_fixed_size: 0
    .sgpr_count:     46
    .sgpr_spill_count: 0
    .symbol:         _ZN4vllm30reshape_and_cache_flash_kernelIttLNS_18Fp8KVCacheDataTypeE0EEEvPKT_S4_PT0_S6_PKlllllliiiPKfSA_.kd
    .uniform_work_group_size: 1
    .uses_dynamic_stack: false
    .vgpr_count:     61
    .vgpr_spill_count: 0
    .wavefront_size: 64
  - .agpr_count:     0
    .args:
      - .address_space:  global
        .offset:         0
        .size:           8
        .value_kind:     global_buffer
      - .address_space:  global
        .offset:         8
        .size:           8
        .value_kind:     global_buffer
      - .actual_access:  write_only
        .address_space:  global
        .offset:         16
        .size:           8
        .value_kind:     global_buffer
      - .actual_access:  write_only
        .address_space:  global
        .offset:         24
        .size:           8
        .value_kind:     global_buffer
      - .actual_access:  read_only
        .address_space:  global
        .offset:         32
        .size:           8
        .value_kind:     global_buffer
      - .offset:         40
        .size:           8
        .value_kind:     by_value
      - .offset:         48
        .size:           8
        .value_kind:     by_value
      - .offset:         56
        .size:           8
        .value_kind:     by_value
      - .offset:         64
        .size:           8
        .value_kind:     by_value
      - .offset:         72
        .size:           8
        .value_kind:     by_value
      - .offset:         80
        .size:           4
        .value_kind:     by_value
      - .offset:         84
        .size:           4
        .value_kind:     by_value
      - .offset:         88
        .size:           4
        .value_kind:     by_value
      - .address_space:  global
        .offset:         96
        .size:           8
        .value_kind:     global_buffer
      - .address_space:  global
        .offset:         104
        .size:           8
        .value_kind:     global_buffer
      - .offset:         112
        .size:           4
        .value_kind:     hidden_block_count_x
      - .offset:         116
        .size:           4
        .value_kind:     hidden_block_count_y
      - .offset:         120
        .size:           4
        .value_kind:     hidden_block_count_z
      - .offset:         124
        .size:           2
        .value_kind:     hidden_group_size_x
      - .offset:         126
        .size:           2
        .value_kind:     hidden_group_size_y
      - .offset:         128
        .size:           2
        .value_kind:     hidden_group_size_z
      - .offset:         130
        .size:           2
        .value_kind:     hidden_remainder_x
      - .offset:         132
        .size:           2
        .value_kind:     hidden_remainder_y
      - .offset:         134
        .size:           2
        .value_kind:     hidden_remainder_z
      - .offset:         152
        .size:           8
        .value_kind:     hidden_global_offset_x
      - .offset:         160
        .size:           8
        .value_kind:     hidden_global_offset_y
      - .offset:         168
        .size:           8
        .value_kind:     hidden_global_offset_z
      - .offset:         176
        .size:           2
        .value_kind:     hidden_grid_dims
    .group_segment_fixed_size: 0
    .kernarg_segment_align: 8
    .kernarg_segment_size: 368
    .language:       OpenCL C
    .language_version:
      - 2
      - 0
    .max_flat_workgroup_size: 1024
    .name:           _ZN4vllm30reshape_and_cache_flash_kernelI14__hip_bfloat16S1_LNS_18Fp8KVCacheDataTypeE0EEEvPKT_S5_PT0_S7_PKlllllliiiPKfSB_
    .private_segment_fixed_size: 0
    .sgpr_count:     46
    .sgpr_spill_count: 0
    .symbol:         _ZN4vllm30reshape_and_cache_flash_kernelI14__hip_bfloat16S1_LNS_18Fp8KVCacheDataTypeE0EEEvPKT_S5_PT0_S7_PKlllllliiiPKfSB_.kd
    .uniform_work_group_size: 1
    .uses_dynamic_stack: false
    .vgpr_count:     61
    .vgpr_spill_count: 0
    .wavefront_size: 64
  - .agpr_count:     0
    .args:
      - .address_space:  global
        .offset:         0
        .size:           8
        .value_kind:     global_buffer
      - .address_space:  global
        .offset:         8
        .size:           8
        .value_kind:     global_buffer
      - .actual_access:  write_only
        .address_space:  global
        .offset:         16
        .size:           8
        .value_kind:     global_buffer
      - .actual_access:  write_only
        .address_space:  global
        .offset:         24
        .size:           8
        .value_kind:     global_buffer
      - .actual_access:  read_only
        .address_space:  global
        .offset:         32
        .size:           8
        .value_kind:     global_buffer
      - .offset:         40
        .size:           8
        .value_kind:     by_value
      - .offset:         48
        .size:           8
        .value_kind:     by_value
      - .offset:         56
        .size:           8
        .value_kind:     by_value
      - .offset:         64
        .size:           8
        .value_kind:     by_value
      - .offset:         72
        .size:           8
        .value_kind:     by_value
      - .offset:         80
        .size:           4
        .value_kind:     by_value
      - .offset:         84
        .size:           4
        .value_kind:     by_value
      - .offset:         88
        .size:           4
        .value_kind:     by_value
      - .address_space:  global
        .offset:         96
        .size:           8
        .value_kind:     global_buffer
      - .address_space:  global
        .offset:         104
        .size:           8
        .value_kind:     global_buffer
      - .offset:         112
        .size:           4
        .value_kind:     hidden_block_count_x
      - .offset:         116
        .size:           4
        .value_kind:     hidden_block_count_y
      - .offset:         120
        .size:           4
        .value_kind:     hidden_block_count_z
      - .offset:         124
        .size:           2
        .value_kind:     hidden_group_size_x
      - .offset:         126
        .size:           2
        .value_kind:     hidden_group_size_y
      - .offset:         128
        .size:           2
        .value_kind:     hidden_group_size_z
      - .offset:         130
        .size:           2
        .value_kind:     hidden_remainder_x
      - .offset:         132
        .size:           2
        .value_kind:     hidden_remainder_y
      - .offset:         134
        .size:           2
        .value_kind:     hidden_remainder_z
      - .offset:         152
        .size:           8
        .value_kind:     hidden_global_offset_x
      - .offset:         160
        .size:           8
        .value_kind:     hidden_global_offset_y
      - .offset:         168
        .size:           8
        .value_kind:     hidden_global_offset_z
      - .offset:         176
        .size:           2
        .value_kind:     hidden_grid_dims
    .group_segment_fixed_size: 0
    .kernarg_segment_align: 8
    .kernarg_segment_size: 368
    .language:       OpenCL C
    .language_version:
      - 2
      - 0
    .max_flat_workgroup_size: 1024
    .name:           _ZN4vllm30reshape_and_cache_flash_kernelIfhLNS_18Fp8KVCacheDataTypeE1EEEvPKT_S4_PT0_S6_PKlllllliiiPKfSA_
    .private_segment_fixed_size: 0
    .sgpr_count:     100
    .sgpr_spill_count: 5
    .symbol:         _ZN4vllm30reshape_and_cache_flash_kernelIfhLNS_18Fp8KVCacheDataTypeE1EEEvPKT_S4_PT0_S6_PKlllllliiiPKfSA_.kd
    .uniform_work_group_size: 1
    .uses_dynamic_stack: false
    .vgpr_count:     78
    .vgpr_spill_count: 0
    .wavefront_size: 64
  - .agpr_count:     0
    .args:
      - .address_space:  global
        .offset:         0
        .size:           8
        .value_kind:     global_buffer
      - .address_space:  global
        .offset:         8
        .size:           8
        .value_kind:     global_buffer
      - .actual_access:  write_only
        .address_space:  global
        .offset:         16
        .size:           8
        .value_kind:     global_buffer
      - .actual_access:  write_only
        .address_space:  global
        .offset:         24
        .size:           8
        .value_kind:     global_buffer
      - .actual_access:  read_only
        .address_space:  global
        .offset:         32
        .size:           8
        .value_kind:     global_buffer
      - .offset:         40
        .size:           8
        .value_kind:     by_value
      - .offset:         48
        .size:           8
        .value_kind:     by_value
      - .offset:         56
        .size:           8
        .value_kind:     by_value
      - .offset:         64
        .size:           8
        .value_kind:     by_value
      - .offset:         72
        .size:           8
        .value_kind:     by_value
      - .offset:         80
        .size:           4
        .value_kind:     by_value
      - .offset:         84
        .size:           4
        .value_kind:     by_value
      - .offset:         88
        .size:           4
        .value_kind:     by_value
      - .address_space:  global
        .offset:         96
        .size:           8
        .value_kind:     global_buffer
      - .address_space:  global
        .offset:         104
        .size:           8
        .value_kind:     global_buffer
      - .offset:         112
        .size:           4
        .value_kind:     hidden_block_count_x
      - .offset:         116
        .size:           4
        .value_kind:     hidden_block_count_y
      - .offset:         120
        .size:           4
        .value_kind:     hidden_block_count_z
      - .offset:         124
        .size:           2
        .value_kind:     hidden_group_size_x
      - .offset:         126
        .size:           2
        .value_kind:     hidden_group_size_y
      - .offset:         128
        .size:           2
        .value_kind:     hidden_group_size_z
      - .offset:         130
        .size:           2
        .value_kind:     hidden_remainder_x
      - .offset:         132
        .size:           2
        .value_kind:     hidden_remainder_y
      - .offset:         134
        .size:           2
        .value_kind:     hidden_remainder_z
      - .offset:         152
        .size:           8
        .value_kind:     hidden_global_offset_x
      - .offset:         160
        .size:           8
        .value_kind:     hidden_global_offset_y
      - .offset:         168
        .size:           8
        .value_kind:     hidden_global_offset_z
      - .offset:         176
        .size:           2
        .value_kind:     hidden_grid_dims
    .group_segment_fixed_size: 0
    .kernarg_segment_align: 8
    .kernarg_segment_size: 368
    .language:       OpenCL C
    .language_version:
      - 2
      - 0
    .max_flat_workgroup_size: 1024
    .name:           _ZN4vllm30reshape_and_cache_flash_kernelIthLNS_18Fp8KVCacheDataTypeE1EEEvPKT_S4_PT0_S6_PKlllllliiiPKfSA_
    .private_segment_fixed_size: 0
    .sgpr_count:     100
    .sgpr_spill_count: 43
    .symbol:         _ZN4vllm30reshape_and_cache_flash_kernelIthLNS_18Fp8KVCacheDataTypeE1EEEvPKT_S4_PT0_S6_PKlllllliiiPKfSA_.kd
    .uniform_work_group_size: 1
    .uses_dynamic_stack: false
    .vgpr_count:     100
    .vgpr_spill_count: 0
    .wavefront_size: 64
  - .agpr_count:     0
    .args:
      - .address_space:  global
        .offset:         0
        .size:           8
        .value_kind:     global_buffer
      - .address_space:  global
        .offset:         8
        .size:           8
        .value_kind:     global_buffer
      - .actual_access:  write_only
        .address_space:  global
        .offset:         16
        .size:           8
        .value_kind:     global_buffer
      - .actual_access:  write_only
        .address_space:  global
        .offset:         24
        .size:           8
        .value_kind:     global_buffer
      - .actual_access:  read_only
        .address_space:  global
        .offset:         32
        .size:           8
        .value_kind:     global_buffer
      - .offset:         40
        .size:           8
        .value_kind:     by_value
      - .offset:         48
        .size:           8
        .value_kind:     by_value
      - .offset:         56
        .size:           8
        .value_kind:     by_value
      - .offset:         64
        .size:           8
        .value_kind:     by_value
      - .offset:         72
        .size:           8
        .value_kind:     by_value
      - .offset:         80
        .size:           4
        .value_kind:     by_value
      - .offset:         84
        .size:           4
        .value_kind:     by_value
      - .offset:         88
        .size:           4
        .value_kind:     by_value
      - .address_space:  global
        .offset:         96
        .size:           8
        .value_kind:     global_buffer
      - .address_space:  global
        .offset:         104
        .size:           8
        .value_kind:     global_buffer
      - .offset:         112
        .size:           4
        .value_kind:     hidden_block_count_x
      - .offset:         116
        .size:           4
        .value_kind:     hidden_block_count_y
      - .offset:         120
        .size:           4
        .value_kind:     hidden_block_count_z
      - .offset:         124
        .size:           2
        .value_kind:     hidden_group_size_x
      - .offset:         126
        .size:           2
        .value_kind:     hidden_group_size_y
      - .offset:         128
        .size:           2
        .value_kind:     hidden_group_size_z
      - .offset:         130
        .size:           2
        .value_kind:     hidden_remainder_x
      - .offset:         132
        .size:           2
        .value_kind:     hidden_remainder_y
      - .offset:         134
        .size:           2
        .value_kind:     hidden_remainder_z
      - .offset:         152
        .size:           8
        .value_kind:     hidden_global_offset_x
      - .offset:         160
        .size:           8
        .value_kind:     hidden_global_offset_y
      - .offset:         168
        .size:           8
        .value_kind:     hidden_global_offset_z
      - .offset:         176
        .size:           2
        .value_kind:     hidden_grid_dims
    .group_segment_fixed_size: 0
    .kernarg_segment_align: 8
    .kernarg_segment_size: 368
    .language:       OpenCL C
    .language_version:
      - 2
      - 0
    .max_flat_workgroup_size: 1024
    .name:           _ZN4vllm30reshape_and_cache_flash_kernelI14__hip_bfloat16hLNS_18Fp8KVCacheDataTypeE1EEEvPKT_S5_PT0_S7_PKlllllliiiPKfSB_
    .private_segment_fixed_size: 0
    .sgpr_count:     100
    .sgpr_spill_count: 35
    .symbol:         _ZN4vllm30reshape_and_cache_flash_kernelI14__hip_bfloat16hLNS_18Fp8KVCacheDataTypeE1EEEvPKT_S5_PT0_S7_PKlllllliiiPKfSB_.kd
    .uniform_work_group_size: 1
    .uses_dynamic_stack: false
    .vgpr_count:     100
    .vgpr_spill_count: 0
    .wavefront_size: 64
  - .agpr_count:     0
    .args:
      - .actual_access:  read_only
        .address_space:  global
        .offset:         0
        .size:           8
        .value_kind:     global_buffer
      - .actual_access:  read_only
        .address_space:  global
        .offset:         8
        .size:           8
        .value_kind:     global_buffer
      - .actual_access:  write_only
        .address_space:  global
        .offset:         16
        .size:           8
        .value_kind:     global_buffer
      - .actual_access:  read_only
        .address_space:  global
        .offset:         24
        .size:           8
        .value_kind:     global_buffer
      - .offset:         32
        .size:           4
        .value_kind:     by_value
      - .offset:         36
        .size:           4
        .value_kind:     by_value
      - .offset:         40
        .size:           4
        .value_kind:     by_value
      - .offset:         44
        .size:           4
        .value_kind:     by_value
      - .offset:         48
        .size:           4
        .value_kind:     by_value
      - .offset:         52
        .size:           4
        .value_kind:     by_value
      - .offset:         56
        .size:           4
        .value_kind:     by_value
      - .address_space:  global
        .offset:         64
        .size:           8
        .value_kind:     global_buffer
      - .offset:         72
        .size:           4
        .value_kind:     hidden_block_count_x
      - .offset:         76
        .size:           4
        .value_kind:     hidden_block_count_y
      - .offset:         80
        .size:           4
        .value_kind:     hidden_block_count_z
      - .offset:         84
        .size:           2
        .value_kind:     hidden_group_size_x
      - .offset:         86
        .size:           2
        .value_kind:     hidden_group_size_y
      - .offset:         88
        .size:           2
        .value_kind:     hidden_group_size_z
      - .offset:         90
        .size:           2
        .value_kind:     hidden_remainder_x
      - .offset:         92
        .size:           2
        .value_kind:     hidden_remainder_y
      - .offset:         94
        .size:           2
        .value_kind:     hidden_remainder_z
      - .offset:         112
        .size:           8
        .value_kind:     hidden_global_offset_x
      - .offset:         120
        .size:           8
        .value_kind:     hidden_global_offset_y
      - .offset:         128
        .size:           8
        .value_kind:     hidden_global_offset_z
      - .offset:         136
        .size:           2
        .value_kind:     hidden_grid_dims
    .group_segment_fixed_size: 0
    .kernarg_segment_align: 8
    .kernarg_segment_size: 328
    .language:       OpenCL C
    .language_version:
      - 2
      - 0
    .max_flat_workgroup_size: 1024
    .name:           _ZN4vllm27concat_and_cache_mla_kernelIffLNS_18Fp8KVCacheDataTypeE0EEEvPKT_S4_PT0_PKliiiiiiiPKf
    .private_segment_fixed_size: 0
    .sgpr_count:     34
    .sgpr_spill_count: 0
    .symbol:         _ZN4vllm27concat_and_cache_mla_kernelIffLNS_18Fp8KVCacheDataTypeE0EEEvPKT_S4_PT0_PKliiiiiiiPKf.kd
    .uniform_work_group_size: 1
    .uses_dynamic_stack: false
    .vgpr_count:     10
    .vgpr_spill_count: 0
    .wavefront_size: 64
  - .agpr_count:     0
    .args:
      - .actual_access:  read_only
        .address_space:  global
        .offset:         0
        .size:           8
        .value_kind:     global_buffer
      - .actual_access:  read_only
        .address_space:  global
        .offset:         8
        .size:           8
        .value_kind:     global_buffer
      - .actual_access:  write_only
        .address_space:  global
        .offset:         16
        .size:           8
        .value_kind:     global_buffer
      - .actual_access:  read_only
        .address_space:  global
        .offset:         24
        .size:           8
        .value_kind:     global_buffer
      - .offset:         32
        .size:           4
        .value_kind:     by_value
      - .offset:         36
        .size:           4
        .value_kind:     by_value
      - .offset:         40
        .size:           4
        .value_kind:     by_value
      - .offset:         44
        .size:           4
        .value_kind:     by_value
      - .offset:         48
        .size:           4
        .value_kind:     by_value
      - .offset:         52
        .size:           4
        .value_kind:     by_value
      - .offset:         56
        .size:           4
        .value_kind:     by_value
      - .address_space:  global
        .offset:         64
        .size:           8
        .value_kind:     global_buffer
      - .offset:         72
        .size:           4
        .value_kind:     hidden_block_count_x
      - .offset:         76
        .size:           4
        .value_kind:     hidden_block_count_y
      - .offset:         80
        .size:           4
        .value_kind:     hidden_block_count_z
      - .offset:         84
        .size:           2
        .value_kind:     hidden_group_size_x
      - .offset:         86
        .size:           2
        .value_kind:     hidden_group_size_y
      - .offset:         88
        .size:           2
        .value_kind:     hidden_group_size_z
      - .offset:         90
        .size:           2
        .value_kind:     hidden_remainder_x
      - .offset:         92
        .size:           2
        .value_kind:     hidden_remainder_y
      - .offset:         94
        .size:           2
        .value_kind:     hidden_remainder_z
      - .offset:         112
        .size:           8
        .value_kind:     hidden_global_offset_x
      - .offset:         120
        .size:           8
        .value_kind:     hidden_global_offset_y
      - .offset:         128
        .size:           8
        .value_kind:     hidden_global_offset_z
      - .offset:         136
        .size:           2
        .value_kind:     hidden_grid_dims
    .group_segment_fixed_size: 0
    .kernarg_segment_align: 8
    .kernarg_segment_size: 328
    .language:       OpenCL C
    .language_version:
      - 2
      - 0
    .max_flat_workgroup_size: 1024
    .name:           _ZN4vllm27concat_and_cache_mla_kernelIttLNS_18Fp8KVCacheDataTypeE0EEEvPKT_S4_PT0_PKliiiiiiiPKf
    .private_segment_fixed_size: 0
    .sgpr_count:     34
    .sgpr_spill_count: 0
    .symbol:         _ZN4vllm27concat_and_cache_mla_kernelIttLNS_18Fp8KVCacheDataTypeE0EEEvPKT_S4_PT0_PKliiiiiiiPKf.kd
    .uniform_work_group_size: 1
    .uses_dynamic_stack: false
    .vgpr_count:     10
    .vgpr_spill_count: 0
    .wavefront_size: 64
  - .agpr_count:     0
    .args:
      - .actual_access:  read_only
        .address_space:  global
        .offset:         0
        .size:           8
        .value_kind:     global_buffer
      - .actual_access:  read_only
        .address_space:  global
        .offset:         8
        .size:           8
        .value_kind:     global_buffer
      - .actual_access:  write_only
        .address_space:  global
        .offset:         16
        .size:           8
        .value_kind:     global_buffer
      - .actual_access:  read_only
        .address_space:  global
        .offset:         24
        .size:           8
        .value_kind:     global_buffer
      - .offset:         32
        .size:           4
        .value_kind:     by_value
      - .offset:         36
        .size:           4
        .value_kind:     by_value
      - .offset:         40
        .size:           4
        .value_kind:     by_value
      - .offset:         44
        .size:           4
        .value_kind:     by_value
      - .offset:         48
        .size:           4
        .value_kind:     by_value
      - .offset:         52
        .size:           4
        .value_kind:     by_value
      - .offset:         56
        .size:           4
        .value_kind:     by_value
      - .address_space:  global
        .offset:         64
        .size:           8
        .value_kind:     global_buffer
      - .offset:         72
        .size:           4
        .value_kind:     hidden_block_count_x
      - .offset:         76
        .size:           4
        .value_kind:     hidden_block_count_y
      - .offset:         80
        .size:           4
        .value_kind:     hidden_block_count_z
      - .offset:         84
        .size:           2
        .value_kind:     hidden_group_size_x
      - .offset:         86
        .size:           2
        .value_kind:     hidden_group_size_y
      - .offset:         88
        .size:           2
        .value_kind:     hidden_group_size_z
      - .offset:         90
        .size:           2
        .value_kind:     hidden_remainder_x
      - .offset:         92
        .size:           2
        .value_kind:     hidden_remainder_y
      - .offset:         94
        .size:           2
        .value_kind:     hidden_remainder_z
      - .offset:         112
        .size:           8
        .value_kind:     hidden_global_offset_x
      - .offset:         120
        .size:           8
        .value_kind:     hidden_global_offset_y
      - .offset:         128
        .size:           8
        .value_kind:     hidden_global_offset_z
      - .offset:         136
        .size:           2
        .value_kind:     hidden_grid_dims
    .group_segment_fixed_size: 0
    .kernarg_segment_align: 8
    .kernarg_segment_size: 328
    .language:       OpenCL C
    .language_version:
      - 2
      - 0
    .max_flat_workgroup_size: 1024
    .name:           _ZN4vllm27concat_and_cache_mla_kernelI14__hip_bfloat16S1_LNS_18Fp8KVCacheDataTypeE0EEEvPKT_S5_PT0_PKliiiiiiiPKf
    .private_segment_fixed_size: 0
    .sgpr_count:     34
    .sgpr_spill_count: 0
    .symbol:         _ZN4vllm27concat_and_cache_mla_kernelI14__hip_bfloat16S1_LNS_18Fp8KVCacheDataTypeE0EEEvPKT_S5_PT0_PKliiiiiiiPKf.kd
    .uniform_work_group_size: 1
    .uses_dynamic_stack: false
    .vgpr_count:     10
    .vgpr_spill_count: 0
    .wavefront_size: 64
  - .agpr_count:     0
    .args:
      - .actual_access:  read_only
        .address_space:  global
        .offset:         0
        .size:           8
        .value_kind:     global_buffer
      - .actual_access:  read_only
        .address_space:  global
        .offset:         8
        .size:           8
        .value_kind:     global_buffer
      - .actual_access:  write_only
        .address_space:  global
        .offset:         16
        .size:           8
        .value_kind:     global_buffer
      - .actual_access:  read_only
        .address_space:  global
        .offset:         24
        .size:           8
        .value_kind:     global_buffer
      - .offset:         32
        .size:           4
        .value_kind:     by_value
      - .offset:         36
        .size:           4
        .value_kind:     by_value
      - .offset:         40
        .size:           4
        .value_kind:     by_value
      - .offset:         44
        .size:           4
        .value_kind:     by_value
      - .offset:         48
        .size:           4
        .value_kind:     by_value
      - .offset:         52
        .size:           4
        .value_kind:     by_value
      - .offset:         56
        .size:           4
        .value_kind:     by_value
      - .address_space:  global
        .offset:         64
        .size:           8
        .value_kind:     global_buffer
      - .offset:         72
        .size:           4
        .value_kind:     hidden_block_count_x
      - .offset:         76
        .size:           4
        .value_kind:     hidden_block_count_y
      - .offset:         80
        .size:           4
        .value_kind:     hidden_block_count_z
      - .offset:         84
        .size:           2
        .value_kind:     hidden_group_size_x
      - .offset:         86
        .size:           2
        .value_kind:     hidden_group_size_y
      - .offset:         88
        .size:           2
        .value_kind:     hidden_group_size_z
      - .offset:         90
        .size:           2
        .value_kind:     hidden_remainder_x
      - .offset:         92
        .size:           2
        .value_kind:     hidden_remainder_y
      - .offset:         94
        .size:           2
        .value_kind:     hidden_remainder_z
      - .offset:         112
        .size:           8
        .value_kind:     hidden_global_offset_x
      - .offset:         120
        .size:           8
        .value_kind:     hidden_global_offset_y
      - .offset:         128
        .size:           8
        .value_kind:     hidden_global_offset_z
      - .offset:         136
        .size:           2
        .value_kind:     hidden_grid_dims
    .group_segment_fixed_size: 0
    .kernarg_segment_align: 8
    .kernarg_segment_size: 328
    .language:       OpenCL C
    .language_version:
      - 2
      - 0
    .max_flat_workgroup_size: 1024
    .name:           _ZN4vllm27concat_and_cache_mla_kernelIfhLNS_18Fp8KVCacheDataTypeE1EEEvPKT_S4_PT0_PKliiiiiiiPKf
    .private_segment_fixed_size: 0
    .sgpr_count:     56
    .sgpr_spill_count: 0
    .symbol:         _ZN4vllm27concat_and_cache_mla_kernelIfhLNS_18Fp8KVCacheDataTypeE1EEEvPKT_S4_PT0_PKliiiiiiiPKf.kd
    .uniform_work_group_size: 1
    .uses_dynamic_stack: false
    .vgpr_count:     18
    .vgpr_spill_count: 0
    .wavefront_size: 64
  - .agpr_count:     0
    .args:
      - .actual_access:  read_only
        .address_space:  global
        .offset:         0
        .size:           8
        .value_kind:     global_buffer
      - .actual_access:  read_only
        .address_space:  global
        .offset:         8
        .size:           8
        .value_kind:     global_buffer
      - .actual_access:  write_only
        .address_space:  global
        .offset:         16
        .size:           8
        .value_kind:     global_buffer
      - .actual_access:  read_only
        .address_space:  global
        .offset:         24
        .size:           8
        .value_kind:     global_buffer
      - .offset:         32
        .size:           4
        .value_kind:     by_value
      - .offset:         36
        .size:           4
        .value_kind:     by_value
      - .offset:         40
        .size:           4
        .value_kind:     by_value
      - .offset:         44
        .size:           4
        .value_kind:     by_value
      - .offset:         48
        .size:           4
        .value_kind:     by_value
      - .offset:         52
        .size:           4
        .value_kind:     by_value
      - .offset:         56
        .size:           4
        .value_kind:     by_value
      - .address_space:  global
        .offset:         64
        .size:           8
        .value_kind:     global_buffer
      - .offset:         72
        .size:           4
        .value_kind:     hidden_block_count_x
      - .offset:         76
        .size:           4
        .value_kind:     hidden_block_count_y
      - .offset:         80
        .size:           4
        .value_kind:     hidden_block_count_z
      - .offset:         84
        .size:           2
        .value_kind:     hidden_group_size_x
      - .offset:         86
        .size:           2
        .value_kind:     hidden_group_size_y
      - .offset:         88
        .size:           2
        .value_kind:     hidden_group_size_z
      - .offset:         90
        .size:           2
        .value_kind:     hidden_remainder_x
      - .offset:         92
        .size:           2
        .value_kind:     hidden_remainder_y
      - .offset:         94
        .size:           2
        .value_kind:     hidden_remainder_z
      - .offset:         112
        .size:           8
        .value_kind:     hidden_global_offset_x
      - .offset:         120
        .size:           8
        .value_kind:     hidden_global_offset_y
      - .offset:         128
        .size:           8
        .value_kind:     hidden_global_offset_z
      - .offset:         136
        .size:           2
        .value_kind:     hidden_grid_dims
    .group_segment_fixed_size: 0
    .kernarg_segment_align: 8
    .kernarg_segment_size: 328
    .language:       OpenCL C
    .language_version:
      - 2
      - 0
    .max_flat_workgroup_size: 1024
    .name:           _ZN4vllm27concat_and_cache_mla_kernelIthLNS_18Fp8KVCacheDataTypeE1EEEvPKT_S4_PT0_PKliiiiiiiPKf
    .private_segment_fixed_size: 0
    .sgpr_count:     56
    .sgpr_spill_count: 0
    .symbol:         _ZN4vllm27concat_and_cache_mla_kernelIthLNS_18Fp8KVCacheDataTypeE1EEEvPKT_S4_PT0_PKliiiiiiiPKf.kd
    .uniform_work_group_size: 1
    .uses_dynamic_stack: false
    .vgpr_count:     18
    .vgpr_spill_count: 0
    .wavefront_size: 64
  - .agpr_count:     0
    .args:
      - .actual_access:  read_only
        .address_space:  global
        .offset:         0
        .size:           8
        .value_kind:     global_buffer
      - .actual_access:  read_only
        .address_space:  global
        .offset:         8
        .size:           8
        .value_kind:     global_buffer
      - .actual_access:  write_only
        .address_space:  global
        .offset:         16
        .size:           8
        .value_kind:     global_buffer
      - .actual_access:  read_only
        .address_space:  global
        .offset:         24
        .size:           8
        .value_kind:     global_buffer
      - .offset:         32
        .size:           4
        .value_kind:     by_value
      - .offset:         36
        .size:           4
        .value_kind:     by_value
      - .offset:         40
        .size:           4
        .value_kind:     by_value
      - .offset:         44
        .size:           4
        .value_kind:     by_value
      - .offset:         48
        .size:           4
        .value_kind:     by_value
      - .offset:         52
        .size:           4
        .value_kind:     by_value
      - .offset:         56
        .size:           4
        .value_kind:     by_value
      - .address_space:  global
        .offset:         64
        .size:           8
        .value_kind:     global_buffer
      - .offset:         72
        .size:           4
        .value_kind:     hidden_block_count_x
      - .offset:         76
        .size:           4
        .value_kind:     hidden_block_count_y
      - .offset:         80
        .size:           4
        .value_kind:     hidden_block_count_z
      - .offset:         84
        .size:           2
        .value_kind:     hidden_group_size_x
      - .offset:         86
        .size:           2
        .value_kind:     hidden_group_size_y
      - .offset:         88
        .size:           2
        .value_kind:     hidden_group_size_z
      - .offset:         90
        .size:           2
        .value_kind:     hidden_remainder_x
      - .offset:         92
        .size:           2
        .value_kind:     hidden_remainder_y
      - .offset:         94
        .size:           2
        .value_kind:     hidden_remainder_z
      - .offset:         112
        .size:           8
        .value_kind:     hidden_global_offset_x
      - .offset:         120
        .size:           8
        .value_kind:     hidden_global_offset_y
      - .offset:         128
        .size:           8
        .value_kind:     hidden_global_offset_z
      - .offset:         136
        .size:           2
        .value_kind:     hidden_grid_dims
    .group_segment_fixed_size: 0
    .kernarg_segment_align: 8
    .kernarg_segment_size: 328
    .language:       OpenCL C
    .language_version:
      - 2
      - 0
    .max_flat_workgroup_size: 1024
    .name:           _ZN4vllm27concat_and_cache_mla_kernelI14__hip_bfloat16hLNS_18Fp8KVCacheDataTypeE1EEEvPKT_S5_PT0_PKliiiiiiiPKf
    .private_segment_fixed_size: 0
    .sgpr_count:     56
    .sgpr_spill_count: 0
    .symbol:         _ZN4vllm27concat_and_cache_mla_kernelI14__hip_bfloat16hLNS_18Fp8KVCacheDataTypeE1EEEvPKT_S5_PT0_PKliiiiiiiPKf.kd
    .uniform_work_group_size: 1
    .uses_dynamic_stack: false
    .vgpr_count:     18
    .vgpr_spill_count: 0
    .wavefront_size: 64
  - .agpr_count:     0
    .args:
      - .actual_access:  read_only
        .address_space:  global
        .offset:         0
        .size:           8
        .value_kind:     global_buffer
      - .actual_access:  read_only
        .address_space:  global
        .offset:         8
        .size:           8
        .value_kind:     global_buffer
      - .offset:         16
        .size:           4
        .value_kind:     by_value
      - .offset:         24
        .size:           8
        .value_kind:     by_value
      - .offset:         32
        .size:           4
        .value_kind:     hidden_block_count_x
      - .offset:         36
        .size:           4
        .value_kind:     hidden_block_count_y
      - .offset:         40
        .size:           4
        .value_kind:     hidden_block_count_z
      - .offset:         44
        .size:           2
        .value_kind:     hidden_group_size_x
      - .offset:         46
        .size:           2
        .value_kind:     hidden_group_size_y
      - .offset:         48
        .size:           2
        .value_kind:     hidden_group_size_z
      - .offset:         50
        .size:           2
        .value_kind:     hidden_remainder_x
      - .offset:         52
        .size:           2
        .value_kind:     hidden_remainder_y
      - .offset:         54
        .size:           2
        .value_kind:     hidden_remainder_z
      - .offset:         72
        .size:           8
        .value_kind:     hidden_global_offset_x
      - .offset:         80
        .size:           8
        .value_kind:     hidden_global_offset_y
      - .offset:         88
        .size:           8
        .value_kind:     hidden_global_offset_z
      - .offset:         96
        .size:           2
        .value_kind:     hidden_grid_dims
      - .offset:         112
        .size:           8
        .value_kind:     hidden_hostcall_buffer
    .group_segment_fixed_size: 0
    .kernarg_segment_align: 8
    .kernarg_segment_size: 288
    .language:       OpenCL C
    .language_version:
      - 2
      - 0
    .max_flat_workgroup_size: 1024
    .name:           _ZN4vllm18convert_fp8_kernelIhfLNS_18Fp8KVCacheDataTypeE0EEEvPKT0_PT_fl
    .private_segment_fixed_size: 64
    .sgpr_count:     40
    .sgpr_spill_count: 0
    .symbol:         _ZN4vllm18convert_fp8_kernelIhfLNS_18Fp8KVCacheDataTypeE0EEEvPKT0_PT_fl.kd
    .uniform_work_group_size: 1
    .uses_dynamic_stack: false
    .vgpr_count:     41
    .vgpr_spill_count: 0
    .wavefront_size: 64
  - .agpr_count:     0
    .args:
      - .actual_access:  read_only
        .address_space:  global
        .offset:         0
        .size:           8
        .value_kind:     global_buffer
      - .actual_access:  read_only
        .address_space:  global
        .offset:         8
        .size:           8
        .value_kind:     global_buffer
      - .offset:         16
        .size:           4
        .value_kind:     by_value
      - .offset:         24
        .size:           8
        .value_kind:     by_value
      - .offset:         32
        .size:           4
        .value_kind:     hidden_block_count_x
      - .offset:         36
        .size:           4
        .value_kind:     hidden_block_count_y
      - .offset:         40
        .size:           4
        .value_kind:     hidden_block_count_z
      - .offset:         44
        .size:           2
        .value_kind:     hidden_group_size_x
      - .offset:         46
        .size:           2
        .value_kind:     hidden_group_size_y
      - .offset:         48
        .size:           2
        .value_kind:     hidden_group_size_z
      - .offset:         50
        .size:           2
        .value_kind:     hidden_remainder_x
      - .offset:         52
        .size:           2
        .value_kind:     hidden_remainder_y
      - .offset:         54
        .size:           2
        .value_kind:     hidden_remainder_z
      - .offset:         72
        .size:           8
        .value_kind:     hidden_global_offset_x
      - .offset:         80
        .size:           8
        .value_kind:     hidden_global_offset_y
      - .offset:         88
        .size:           8
        .value_kind:     hidden_global_offset_z
      - .offset:         96
        .size:           2
        .value_kind:     hidden_grid_dims
      - .offset:         112
        .size:           8
        .value_kind:     hidden_hostcall_buffer
    .group_segment_fixed_size: 0
    .kernarg_segment_align: 8
    .kernarg_segment_size: 288
    .language:       OpenCL C
    .language_version:
      - 2
      - 0
    .max_flat_workgroup_size: 1024
    .name:           _ZN4vllm18convert_fp8_kernelIhtLNS_18Fp8KVCacheDataTypeE0EEEvPKT0_PT_fl
    .private_segment_fixed_size: 64
    .sgpr_count:     40
    .sgpr_spill_count: 0
    .symbol:         _ZN4vllm18convert_fp8_kernelIhtLNS_18Fp8KVCacheDataTypeE0EEEvPKT0_PT_fl.kd
    .uniform_work_group_size: 1
    .uses_dynamic_stack: false
    .vgpr_count:     41
    .vgpr_spill_count: 0
    .wavefront_size: 64
  - .agpr_count:     0
    .args:
      - .actual_access:  read_only
        .address_space:  global
        .offset:         0
        .size:           8
        .value_kind:     global_buffer
      - .actual_access:  read_only
        .address_space:  global
        .offset:         8
        .size:           8
        .value_kind:     global_buffer
      - .offset:         16
        .size:           4
        .value_kind:     by_value
      - .offset:         24
        .size:           8
        .value_kind:     by_value
      - .offset:         32
        .size:           4
        .value_kind:     hidden_block_count_x
      - .offset:         36
        .size:           4
        .value_kind:     hidden_block_count_y
      - .offset:         40
        .size:           4
        .value_kind:     hidden_block_count_z
      - .offset:         44
        .size:           2
        .value_kind:     hidden_group_size_x
      - .offset:         46
        .size:           2
        .value_kind:     hidden_group_size_y
      - .offset:         48
        .size:           2
        .value_kind:     hidden_group_size_z
      - .offset:         50
        .size:           2
        .value_kind:     hidden_remainder_x
      - .offset:         52
        .size:           2
        .value_kind:     hidden_remainder_y
      - .offset:         54
        .size:           2
        .value_kind:     hidden_remainder_z
      - .offset:         72
        .size:           8
        .value_kind:     hidden_global_offset_x
      - .offset:         80
        .size:           8
        .value_kind:     hidden_global_offset_y
      - .offset:         88
        .size:           8
        .value_kind:     hidden_global_offset_z
      - .offset:         96
        .size:           2
        .value_kind:     hidden_grid_dims
      - .offset:         112
        .size:           8
        .value_kind:     hidden_hostcall_buffer
    .group_segment_fixed_size: 0
    .kernarg_segment_align: 8
    .kernarg_segment_size: 288
    .language:       OpenCL C
    .language_version:
      - 2
      - 0
    .max_flat_workgroup_size: 1024
    .name:           _ZN4vllm18convert_fp8_kernelIh14__hip_bfloat16LNS_18Fp8KVCacheDataTypeE0EEEvPKT0_PT_fl
    .private_segment_fixed_size: 64
    .sgpr_count:     40
    .sgpr_spill_count: 0
    .symbol:         _ZN4vllm18convert_fp8_kernelIh14__hip_bfloat16LNS_18Fp8KVCacheDataTypeE0EEEvPKT0_PT_fl.kd
    .uniform_work_group_size: 1
    .uses_dynamic_stack: false
    .vgpr_count:     41
    .vgpr_spill_count: 0
    .wavefront_size: 64
  - .agpr_count:     0
    .args:
      - .actual_access:  read_only
        .address_space:  global
        .offset:         0
        .size:           8
        .value_kind:     global_buffer
      - .actual_access:  read_only
        .address_space:  global
        .offset:         8
        .size:           8
        .value_kind:     global_buffer
      - .offset:         16
        .size:           4
        .value_kind:     by_value
      - .offset:         24
        .size:           8
        .value_kind:     by_value
      - .offset:         32
        .size:           4
        .value_kind:     hidden_block_count_x
      - .offset:         36
        .size:           4
        .value_kind:     hidden_block_count_y
      - .offset:         40
        .size:           4
        .value_kind:     hidden_block_count_z
      - .offset:         44
        .size:           2
        .value_kind:     hidden_group_size_x
      - .offset:         46
        .size:           2
        .value_kind:     hidden_group_size_y
      - .offset:         48
        .size:           2
        .value_kind:     hidden_group_size_z
      - .offset:         50
        .size:           2
        .value_kind:     hidden_remainder_x
      - .offset:         52
        .size:           2
        .value_kind:     hidden_remainder_y
      - .offset:         54
        .size:           2
        .value_kind:     hidden_remainder_z
      - .offset:         72
        .size:           8
        .value_kind:     hidden_global_offset_x
      - .offset:         80
        .size:           8
        .value_kind:     hidden_global_offset_y
      - .offset:         88
        .size:           8
        .value_kind:     hidden_global_offset_z
      - .offset:         96
        .size:           2
        .value_kind:     hidden_grid_dims
      - .offset:         112
        .size:           8
        .value_kind:     hidden_hostcall_buffer
    .group_segment_fixed_size: 0
    .kernarg_segment_align: 8
    .kernarg_segment_size: 288
    .language:       OpenCL C
    .language_version:
      - 2
      - 0
    .max_flat_workgroup_size: 1024
    .name:           _ZN4vllm18convert_fp8_kernelIfhLNS_18Fp8KVCacheDataTypeE0EEEvPKT0_PT_fl
    .private_segment_fixed_size: 64
    .sgpr_count:     40
    .sgpr_spill_count: 0
    .symbol:         _ZN4vllm18convert_fp8_kernelIfhLNS_18Fp8KVCacheDataTypeE0EEEvPKT0_PT_fl.kd
    .uniform_work_group_size: 1
    .uses_dynamic_stack: false
    .vgpr_count:     41
    .vgpr_spill_count: 0
    .wavefront_size: 64
  - .agpr_count:     0
    .args:
      - .actual_access:  read_only
        .address_space:  global
        .offset:         0
        .size:           8
        .value_kind:     global_buffer
      - .actual_access:  read_only
        .address_space:  global
        .offset:         8
        .size:           8
        .value_kind:     global_buffer
      - .offset:         16
        .size:           4
        .value_kind:     by_value
      - .offset:         24
        .size:           8
        .value_kind:     by_value
      - .offset:         32
        .size:           4
        .value_kind:     hidden_block_count_x
      - .offset:         36
        .size:           4
        .value_kind:     hidden_block_count_y
      - .offset:         40
        .size:           4
        .value_kind:     hidden_block_count_z
      - .offset:         44
        .size:           2
        .value_kind:     hidden_group_size_x
      - .offset:         46
        .size:           2
        .value_kind:     hidden_group_size_y
      - .offset:         48
        .size:           2
        .value_kind:     hidden_group_size_z
      - .offset:         50
        .size:           2
        .value_kind:     hidden_remainder_x
      - .offset:         52
        .size:           2
        .value_kind:     hidden_remainder_y
      - .offset:         54
        .size:           2
        .value_kind:     hidden_remainder_z
      - .offset:         72
        .size:           8
        .value_kind:     hidden_global_offset_x
      - .offset:         80
        .size:           8
        .value_kind:     hidden_global_offset_y
      - .offset:         88
        .size:           8
        .value_kind:     hidden_global_offset_z
      - .offset:         96
        .size:           2
        .value_kind:     hidden_grid_dims
      - .offset:         112
        .size:           8
        .value_kind:     hidden_hostcall_buffer
    .group_segment_fixed_size: 0
    .kernarg_segment_align: 8
    .kernarg_segment_size: 288
    .language:       OpenCL C
    .language_version:
      - 2
      - 0
    .max_flat_workgroup_size: 1024
    .name:           _ZN4vllm18convert_fp8_kernelIthLNS_18Fp8KVCacheDataTypeE0EEEvPKT0_PT_fl
    .private_segment_fixed_size: 64
    .sgpr_count:     40
    .sgpr_spill_count: 0
    .symbol:         _ZN4vllm18convert_fp8_kernelIthLNS_18Fp8KVCacheDataTypeE0EEEvPKT0_PT_fl.kd
    .uniform_work_group_size: 1
    .uses_dynamic_stack: false
    .vgpr_count:     41
    .vgpr_spill_count: 0
    .wavefront_size: 64
  - .agpr_count:     0
    .args:
      - .actual_access:  read_only
        .address_space:  global
        .offset:         0
        .size:           8
        .value_kind:     global_buffer
      - .actual_access:  read_only
        .address_space:  global
        .offset:         8
        .size:           8
        .value_kind:     global_buffer
      - .offset:         16
        .size:           4
        .value_kind:     by_value
      - .offset:         24
        .size:           8
        .value_kind:     by_value
      - .offset:         32
        .size:           4
        .value_kind:     hidden_block_count_x
      - .offset:         36
        .size:           4
        .value_kind:     hidden_block_count_y
      - .offset:         40
        .size:           4
        .value_kind:     hidden_block_count_z
      - .offset:         44
        .size:           2
        .value_kind:     hidden_group_size_x
      - .offset:         46
        .size:           2
        .value_kind:     hidden_group_size_y
      - .offset:         48
        .size:           2
        .value_kind:     hidden_group_size_z
      - .offset:         50
        .size:           2
        .value_kind:     hidden_remainder_x
      - .offset:         52
        .size:           2
        .value_kind:     hidden_remainder_y
      - .offset:         54
        .size:           2
        .value_kind:     hidden_remainder_z
      - .offset:         72
        .size:           8
        .value_kind:     hidden_global_offset_x
      - .offset:         80
        .size:           8
        .value_kind:     hidden_global_offset_y
      - .offset:         88
        .size:           8
        .value_kind:     hidden_global_offset_z
      - .offset:         96
        .size:           2
        .value_kind:     hidden_grid_dims
      - .offset:         112
        .size:           8
        .value_kind:     hidden_hostcall_buffer
    .group_segment_fixed_size: 0
    .kernarg_segment_align: 8
    .kernarg_segment_size: 288
    .language:       OpenCL C
    .language_version:
      - 2
      - 0
    .max_flat_workgroup_size: 1024
    .name:           _ZN4vllm18convert_fp8_kernelI14__hip_bfloat16hLNS_18Fp8KVCacheDataTypeE0EEEvPKT0_PT_fl
    .private_segment_fixed_size: 64
    .sgpr_count:     40
    .sgpr_spill_count: 0
    .symbol:         _ZN4vllm18convert_fp8_kernelI14__hip_bfloat16hLNS_18Fp8KVCacheDataTypeE0EEEvPKT0_PT_fl.kd
    .uniform_work_group_size: 1
    .uses_dynamic_stack: false
    .vgpr_count:     41
    .vgpr_spill_count: 0
    .wavefront_size: 64
  - .agpr_count:     0
    .args:
      - .actual_access:  read_only
        .address_space:  global
        .offset:         0
        .size:           8
        .value_kind:     global_buffer
      - .actual_access:  write_only
        .address_space:  global
        .offset:         8
        .size:           8
        .value_kind:     global_buffer
      - .offset:         16
        .size:           4
        .value_kind:     by_value
      - .offset:         24
        .size:           8
        .value_kind:     by_value
      - .offset:         32
        .size:           4
        .value_kind:     hidden_block_count_x
      - .offset:         36
        .size:           4
        .value_kind:     hidden_block_count_y
      - .offset:         40
        .size:           4
        .value_kind:     hidden_block_count_z
      - .offset:         44
        .size:           2
        .value_kind:     hidden_group_size_x
      - .offset:         46
        .size:           2
        .value_kind:     hidden_group_size_y
      - .offset:         48
        .size:           2
        .value_kind:     hidden_group_size_z
      - .offset:         50
        .size:           2
        .value_kind:     hidden_remainder_x
      - .offset:         52
        .size:           2
        .value_kind:     hidden_remainder_y
      - .offset:         54
        .size:           2
        .value_kind:     hidden_remainder_z
      - .offset:         72
        .size:           8
        .value_kind:     hidden_global_offset_x
      - .offset:         80
        .size:           8
        .value_kind:     hidden_global_offset_y
      - .offset:         88
        .size:           8
        .value_kind:     hidden_global_offset_z
      - .offset:         96
        .size:           2
        .value_kind:     hidden_grid_dims
    .group_segment_fixed_size: 0
    .kernarg_segment_align: 8
    .kernarg_segment_size: 288
    .language:       OpenCL C
    .language_version:
      - 2
      - 0
    .max_flat_workgroup_size: 1024
    .name:           _ZN4vllm18convert_fp8_kernelIhfLNS_18Fp8KVCacheDataTypeE1EEEvPKT0_PT_fl
    .private_segment_fixed_size: 0
    .sgpr_count:     34
    .sgpr_spill_count: 0
    .symbol:         _ZN4vllm18convert_fp8_kernelIhfLNS_18Fp8KVCacheDataTypeE1EEEvPKT0_PT_fl.kd
    .uniform_work_group_size: 1
    .uses_dynamic_stack: false
    .vgpr_count:     19
    .vgpr_spill_count: 0
    .wavefront_size: 64
  - .agpr_count:     0
    .args:
      - .actual_access:  read_only
        .address_space:  global
        .offset:         0
        .size:           8
        .value_kind:     global_buffer
      - .actual_access:  write_only
        .address_space:  global
        .offset:         8
        .size:           8
        .value_kind:     global_buffer
      - .offset:         16
        .size:           4
        .value_kind:     by_value
      - .offset:         24
        .size:           8
        .value_kind:     by_value
      - .offset:         32
        .size:           4
        .value_kind:     hidden_block_count_x
      - .offset:         36
        .size:           4
        .value_kind:     hidden_block_count_y
      - .offset:         40
        .size:           4
        .value_kind:     hidden_block_count_z
      - .offset:         44
        .size:           2
        .value_kind:     hidden_group_size_x
      - .offset:         46
        .size:           2
        .value_kind:     hidden_group_size_y
      - .offset:         48
        .size:           2
        .value_kind:     hidden_group_size_z
      - .offset:         50
        .size:           2
        .value_kind:     hidden_remainder_x
      - .offset:         52
        .size:           2
        .value_kind:     hidden_remainder_y
      - .offset:         54
        .size:           2
        .value_kind:     hidden_remainder_z
      - .offset:         72
        .size:           8
        .value_kind:     hidden_global_offset_x
      - .offset:         80
        .size:           8
        .value_kind:     hidden_global_offset_y
      - .offset:         88
        .size:           8
        .value_kind:     hidden_global_offset_z
      - .offset:         96
        .size:           2
        .value_kind:     hidden_grid_dims
    .group_segment_fixed_size: 0
    .kernarg_segment_align: 8
    .kernarg_segment_size: 288
    .language:       OpenCL C
    .language_version:
      - 2
      - 0
    .max_flat_workgroup_size: 1024
    .name:           _ZN4vllm18convert_fp8_kernelIhtLNS_18Fp8KVCacheDataTypeE1EEEvPKT0_PT_fl
    .private_segment_fixed_size: 0
    .sgpr_count:     34
    .sgpr_spill_count: 0
    .symbol:         _ZN4vllm18convert_fp8_kernelIhtLNS_18Fp8KVCacheDataTypeE1EEEvPKT0_PT_fl.kd
    .uniform_work_group_size: 1
    .uses_dynamic_stack: false
    .vgpr_count:     19
    .vgpr_spill_count: 0
    .wavefront_size: 64
  - .agpr_count:     0
    .args:
      - .actual_access:  read_only
        .address_space:  global
        .offset:         0
        .size:           8
        .value_kind:     global_buffer
      - .actual_access:  write_only
        .address_space:  global
        .offset:         8
        .size:           8
        .value_kind:     global_buffer
      - .offset:         16
        .size:           4
        .value_kind:     by_value
      - .offset:         24
        .size:           8
        .value_kind:     by_value
      - .offset:         32
        .size:           4
        .value_kind:     hidden_block_count_x
      - .offset:         36
        .size:           4
        .value_kind:     hidden_block_count_y
      - .offset:         40
        .size:           4
        .value_kind:     hidden_block_count_z
      - .offset:         44
        .size:           2
        .value_kind:     hidden_group_size_x
      - .offset:         46
        .size:           2
        .value_kind:     hidden_group_size_y
      - .offset:         48
        .size:           2
        .value_kind:     hidden_group_size_z
      - .offset:         50
        .size:           2
        .value_kind:     hidden_remainder_x
      - .offset:         52
        .size:           2
        .value_kind:     hidden_remainder_y
      - .offset:         54
        .size:           2
        .value_kind:     hidden_remainder_z
      - .offset:         72
        .size:           8
        .value_kind:     hidden_global_offset_x
      - .offset:         80
        .size:           8
        .value_kind:     hidden_global_offset_y
      - .offset:         88
        .size:           8
        .value_kind:     hidden_global_offset_z
      - .offset:         96
        .size:           2
        .value_kind:     hidden_grid_dims
    .group_segment_fixed_size: 0
    .kernarg_segment_align: 8
    .kernarg_segment_size: 288
    .language:       OpenCL C
    .language_version:
      - 2
      - 0
    .max_flat_workgroup_size: 1024
    .name:           _ZN4vllm18convert_fp8_kernelIh14__hip_bfloat16LNS_18Fp8KVCacheDataTypeE1EEEvPKT0_PT_fl
    .private_segment_fixed_size: 0
    .sgpr_count:     34
    .sgpr_spill_count: 0
    .symbol:         _ZN4vllm18convert_fp8_kernelIh14__hip_bfloat16LNS_18Fp8KVCacheDataTypeE1EEEvPKT0_PT_fl.kd
    .uniform_work_group_size: 1
    .uses_dynamic_stack: false
    .vgpr_count:     19
    .vgpr_spill_count: 0
    .wavefront_size: 64
  - .agpr_count:     0
    .args:
      - .actual_access:  read_only
        .address_space:  global
        .offset:         0
        .size:           8
        .value_kind:     global_buffer
      - .actual_access:  write_only
        .address_space:  global
        .offset:         8
        .size:           8
        .value_kind:     global_buffer
      - .offset:         16
        .size:           4
        .value_kind:     by_value
      - .offset:         24
        .size:           8
        .value_kind:     by_value
      - .offset:         32
        .size:           4
        .value_kind:     hidden_block_count_x
      - .offset:         36
        .size:           4
        .value_kind:     hidden_block_count_y
      - .offset:         40
        .size:           4
        .value_kind:     hidden_block_count_z
      - .offset:         44
        .size:           2
        .value_kind:     hidden_group_size_x
      - .offset:         46
        .size:           2
        .value_kind:     hidden_group_size_y
      - .offset:         48
        .size:           2
        .value_kind:     hidden_group_size_z
      - .offset:         50
        .size:           2
        .value_kind:     hidden_remainder_x
      - .offset:         52
        .size:           2
        .value_kind:     hidden_remainder_y
      - .offset:         54
        .size:           2
        .value_kind:     hidden_remainder_z
      - .offset:         72
        .size:           8
        .value_kind:     hidden_global_offset_x
      - .offset:         80
        .size:           8
        .value_kind:     hidden_global_offset_y
      - .offset:         88
        .size:           8
        .value_kind:     hidden_global_offset_z
      - .offset:         96
        .size:           2
        .value_kind:     hidden_grid_dims
    .group_segment_fixed_size: 0
    .kernarg_segment_align: 8
    .kernarg_segment_size: 288
    .language:       OpenCL C
    .language_version:
      - 2
      - 0
    .max_flat_workgroup_size: 1024
    .name:           _ZN4vllm18convert_fp8_kernelIfhLNS_18Fp8KVCacheDataTypeE1EEEvPKT0_PT_fl
    .private_segment_fixed_size: 0
    .sgpr_count:     22
    .sgpr_spill_count: 0
    .symbol:         _ZN4vllm18convert_fp8_kernelIfhLNS_18Fp8KVCacheDataTypeE1EEEvPKT0_PT_fl.kd
    .uniform_work_group_size: 1
    .uses_dynamic_stack: false
    .vgpr_count:     15
    .vgpr_spill_count: 0
    .wavefront_size: 64
  - .agpr_count:     0
    .args:
      - .actual_access:  read_only
        .address_space:  global
        .offset:         0
        .size:           8
        .value_kind:     global_buffer
      - .actual_access:  write_only
        .address_space:  global
        .offset:         8
        .size:           8
        .value_kind:     global_buffer
      - .offset:         16
        .size:           4
        .value_kind:     by_value
      - .offset:         24
        .size:           8
        .value_kind:     by_value
      - .offset:         32
        .size:           4
        .value_kind:     hidden_block_count_x
      - .offset:         36
        .size:           4
        .value_kind:     hidden_block_count_y
      - .offset:         40
        .size:           4
        .value_kind:     hidden_block_count_z
      - .offset:         44
        .size:           2
        .value_kind:     hidden_group_size_x
      - .offset:         46
        .size:           2
        .value_kind:     hidden_group_size_y
      - .offset:         48
        .size:           2
        .value_kind:     hidden_group_size_z
      - .offset:         50
        .size:           2
        .value_kind:     hidden_remainder_x
      - .offset:         52
        .size:           2
        .value_kind:     hidden_remainder_y
      - .offset:         54
        .size:           2
        .value_kind:     hidden_remainder_z
      - .offset:         72
        .size:           8
        .value_kind:     hidden_global_offset_x
      - .offset:         80
        .size:           8
        .value_kind:     hidden_global_offset_y
      - .offset:         88
        .size:           8
        .value_kind:     hidden_global_offset_z
      - .offset:         96
        .size:           2
        .value_kind:     hidden_grid_dims
    .group_segment_fixed_size: 0
    .kernarg_segment_align: 8
    .kernarg_segment_size: 288
    .language:       OpenCL C
    .language_version:
      - 2
      - 0
    .max_flat_workgroup_size: 1024
    .name:           _ZN4vllm18convert_fp8_kernelIthLNS_18Fp8KVCacheDataTypeE1EEEvPKT0_PT_fl
    .private_segment_fixed_size: 0
    .sgpr_count:     22
    .sgpr_spill_count: 0
    .symbol:         _ZN4vllm18convert_fp8_kernelIthLNS_18Fp8KVCacheDataTypeE1EEEvPKT0_PT_fl.kd
    .uniform_work_group_size: 1
    .uses_dynamic_stack: false
    .vgpr_count:     15
    .vgpr_spill_count: 0
    .wavefront_size: 64
  - .agpr_count:     0
    .args:
      - .actual_access:  read_only
        .address_space:  global
        .offset:         0
        .size:           8
        .value_kind:     global_buffer
      - .actual_access:  write_only
        .address_space:  global
        .offset:         8
        .size:           8
        .value_kind:     global_buffer
      - .offset:         16
        .size:           4
        .value_kind:     by_value
      - .offset:         24
        .size:           8
        .value_kind:     by_value
      - .offset:         32
        .size:           4
        .value_kind:     hidden_block_count_x
      - .offset:         36
        .size:           4
        .value_kind:     hidden_block_count_y
      - .offset:         40
        .size:           4
        .value_kind:     hidden_block_count_z
      - .offset:         44
        .size:           2
        .value_kind:     hidden_group_size_x
      - .offset:         46
        .size:           2
        .value_kind:     hidden_group_size_y
      - .offset:         48
        .size:           2
        .value_kind:     hidden_group_size_z
      - .offset:         50
        .size:           2
        .value_kind:     hidden_remainder_x
      - .offset:         52
        .size:           2
        .value_kind:     hidden_remainder_y
      - .offset:         54
        .size:           2
        .value_kind:     hidden_remainder_z
      - .offset:         72
        .size:           8
        .value_kind:     hidden_global_offset_x
      - .offset:         80
        .size:           8
        .value_kind:     hidden_global_offset_y
      - .offset:         88
        .size:           8
        .value_kind:     hidden_global_offset_z
      - .offset:         96
        .size:           2
        .value_kind:     hidden_grid_dims
    .group_segment_fixed_size: 0
    .kernarg_segment_align: 8
    .kernarg_segment_size: 288
    .language:       OpenCL C
    .language_version:
      - 2
      - 0
    .max_flat_workgroup_size: 1024
    .name:           _ZN4vllm18convert_fp8_kernelI14__hip_bfloat16hLNS_18Fp8KVCacheDataTypeE1EEEvPKT0_PT_fl
    .private_segment_fixed_size: 0
    .sgpr_count:     24
    .sgpr_spill_count: 0
    .symbol:         _ZN4vllm18convert_fp8_kernelI14__hip_bfloat16hLNS_18Fp8KVCacheDataTypeE1EEEvPKT0_PT_fl.kd
    .uniform_work_group_size: 1
    .uses_dynamic_stack: false
    .vgpr_count:     16
    .vgpr_spill_count: 0
    .wavefront_size: 64
  - .agpr_count:     0
    .args:
      - .actual_access:  read_only
        .address_space:  global
        .offset:         0
        .size:           8
        .value_kind:     global_buffer
      - .actual_access:  write_only
        .address_space:  global
        .offset:         8
        .size:           8
        .value_kind:     global_buffer
      - .actual_access:  read_only
        .address_space:  global
        .offset:         16
        .size:           8
        .value_kind:     global_buffer
      - .actual_access:  read_only
        .address_space:  global
        .offset:         24
        .size:           8
        .value_kind:     global_buffer
      - .offset:         32
        .size:           4
        .value_kind:     by_value
      - .offset:         36
        .size:           4
        .value_kind:     by_value
      - .offset:         40
        .size:           8
        .value_kind:     by_value
      - .offset:         48
        .size:           8
        .value_kind:     by_value
      - .offset:         56
        .size:           8
        .value_kind:     by_value
      - .offset:         64
        .size:           8
        .value_kind:     by_value
      - .actual_access:  read_only
        .address_space:  global
        .offset:         72
        .size:           8
        .value_kind:     global_buffer
      - .actual_access:  read_only
        .address_space:  global
        .offset:         80
        .size:           8
        .value_kind:     global_buffer
      - .offset:         88
        .size:           4
        .value_kind:     hidden_block_count_x
      - .offset:         92
        .size:           4
        .value_kind:     hidden_block_count_y
      - .offset:         96
        .size:           4
        .value_kind:     hidden_block_count_z
      - .offset:         100
        .size:           2
        .value_kind:     hidden_group_size_x
      - .offset:         102
        .size:           2
        .value_kind:     hidden_group_size_y
      - .offset:         104
        .size:           2
        .value_kind:     hidden_group_size_z
      - .offset:         106
        .size:           2
        .value_kind:     hidden_remainder_x
      - .offset:         108
        .size:           2
        .value_kind:     hidden_remainder_y
      - .offset:         110
        .size:           2
        .value_kind:     hidden_remainder_z
      - .offset:         128
        .size:           8
        .value_kind:     hidden_global_offset_x
      - .offset:         136
        .size:           8
        .value_kind:     hidden_global_offset_y
      - .offset:         144
        .size:           8
        .value_kind:     hidden_global_offset_z
      - .offset:         152
        .size:           2
        .value_kind:     hidden_grid_dims
    .group_segment_fixed_size: 0
    .kernarg_segment_align: 8
    .kernarg_segment_size: 344
    .language:       OpenCL C
    .language_version:
      - 2
      - 0
    .max_flat_workgroup_size: 1024
    .name:           _ZN4vllm30gather_and_maybe_dequant_cacheIffLNS_18Fp8KVCacheDataTypeE0EEEvPKT0_PT_PKiS8_iillllPKfS8_
    .private_segment_fixed_size: 0
    .sgpr_count:     42
    .sgpr_spill_count: 0
    .symbol:         _ZN4vllm30gather_and_maybe_dequant_cacheIffLNS_18Fp8KVCacheDataTypeE0EEEvPKT0_PT_PKiS8_iillllPKfS8_.kd
    .uniform_work_group_size: 1
    .uses_dynamic_stack: false
    .vgpr_count:     10
    .vgpr_spill_count: 0
    .wavefront_size: 64
  - .agpr_count:     0
    .args:
      - .actual_access:  read_only
        .address_space:  global
        .offset:         0
        .size:           8
        .value_kind:     global_buffer
      - .actual_access:  write_only
        .address_space:  global
        .offset:         8
        .size:           8
        .value_kind:     global_buffer
      - .actual_access:  read_only
        .address_space:  global
        .offset:         16
        .size:           8
        .value_kind:     global_buffer
      - .actual_access:  read_only
        .address_space:  global
        .offset:         24
        .size:           8
        .value_kind:     global_buffer
      - .offset:         32
        .size:           4
        .value_kind:     by_value
      - .offset:         36
        .size:           4
        .value_kind:     by_value
      - .offset:         40
        .size:           8
        .value_kind:     by_value
      - .offset:         48
        .size:           8
        .value_kind:     by_value
      - .offset:         56
        .size:           8
        .value_kind:     by_value
      - .offset:         64
        .size:           8
        .value_kind:     by_value
      - .actual_access:  read_only
        .address_space:  global
        .offset:         72
        .size:           8
        .value_kind:     global_buffer
      - .actual_access:  read_only
        .address_space:  global
        .offset:         80
        .size:           8
        .value_kind:     global_buffer
      - .offset:         88
        .size:           4
        .value_kind:     hidden_block_count_x
      - .offset:         92
        .size:           4
        .value_kind:     hidden_block_count_y
      - .offset:         96
        .size:           4
        .value_kind:     hidden_block_count_z
      - .offset:         100
        .size:           2
        .value_kind:     hidden_group_size_x
      - .offset:         102
        .size:           2
        .value_kind:     hidden_group_size_y
      - .offset:         104
        .size:           2
        .value_kind:     hidden_group_size_z
      - .offset:         106
        .size:           2
        .value_kind:     hidden_remainder_x
      - .offset:         108
        .size:           2
        .value_kind:     hidden_remainder_y
      - .offset:         110
        .size:           2
        .value_kind:     hidden_remainder_z
      - .offset:         128
        .size:           8
        .value_kind:     hidden_global_offset_x
      - .offset:         136
        .size:           8
        .value_kind:     hidden_global_offset_y
      - .offset:         144
        .size:           8
        .value_kind:     hidden_global_offset_z
      - .offset:         152
        .size:           2
        .value_kind:     hidden_grid_dims
    .group_segment_fixed_size: 0
    .kernarg_segment_align: 8
    .kernarg_segment_size: 344
    .language:       OpenCL C
    .language_version:
      - 2
      - 0
    .max_flat_workgroup_size: 1024
    .name:           _ZN4vllm30gather_and_maybe_dequant_cacheIttLNS_18Fp8KVCacheDataTypeE0EEEvPKT0_PT_PKiS8_iillllPKfS8_
    .private_segment_fixed_size: 0
    .sgpr_count:     42
    .sgpr_spill_count: 0
    .symbol:         _ZN4vllm30gather_and_maybe_dequant_cacheIttLNS_18Fp8KVCacheDataTypeE0EEEvPKT0_PT_PKiS8_iillllPKfS8_.kd
    .uniform_work_group_size: 1
    .uses_dynamic_stack: false
    .vgpr_count:     10
    .vgpr_spill_count: 0
    .wavefront_size: 64
  - .agpr_count:     0
    .args:
      - .actual_access:  read_only
        .address_space:  global
        .offset:         0
        .size:           8
        .value_kind:     global_buffer
      - .actual_access:  write_only
        .address_space:  global
        .offset:         8
        .size:           8
        .value_kind:     global_buffer
      - .actual_access:  read_only
        .address_space:  global
        .offset:         16
        .size:           8
        .value_kind:     global_buffer
      - .actual_access:  read_only
        .address_space:  global
        .offset:         24
        .size:           8
        .value_kind:     global_buffer
      - .offset:         32
        .size:           4
        .value_kind:     by_value
      - .offset:         36
        .size:           4
        .value_kind:     by_value
      - .offset:         40
        .size:           8
        .value_kind:     by_value
      - .offset:         48
        .size:           8
        .value_kind:     by_value
      - .offset:         56
        .size:           8
        .value_kind:     by_value
      - .offset:         64
        .size:           8
        .value_kind:     by_value
      - .actual_access:  read_only
        .address_space:  global
        .offset:         72
        .size:           8
        .value_kind:     global_buffer
      - .actual_access:  read_only
        .address_space:  global
        .offset:         80
        .size:           8
        .value_kind:     global_buffer
      - .offset:         88
        .size:           4
        .value_kind:     hidden_block_count_x
      - .offset:         92
        .size:           4
        .value_kind:     hidden_block_count_y
      - .offset:         96
        .size:           4
        .value_kind:     hidden_block_count_z
      - .offset:         100
        .size:           2
        .value_kind:     hidden_group_size_x
      - .offset:         102
        .size:           2
        .value_kind:     hidden_group_size_y
      - .offset:         104
        .size:           2
        .value_kind:     hidden_group_size_z
      - .offset:         106
        .size:           2
        .value_kind:     hidden_remainder_x
      - .offset:         108
        .size:           2
        .value_kind:     hidden_remainder_y
      - .offset:         110
        .size:           2
        .value_kind:     hidden_remainder_z
      - .offset:         128
        .size:           8
        .value_kind:     hidden_global_offset_x
      - .offset:         136
        .size:           8
        .value_kind:     hidden_global_offset_y
      - .offset:         144
        .size:           8
        .value_kind:     hidden_global_offset_z
      - .offset:         152
        .size:           2
        .value_kind:     hidden_grid_dims
    .group_segment_fixed_size: 0
    .kernarg_segment_align: 8
    .kernarg_segment_size: 344
    .language:       OpenCL C
    .language_version:
      - 2
      - 0
    .max_flat_workgroup_size: 1024
    .name:           _ZN4vllm30gather_and_maybe_dequant_cacheI14__hip_bfloat16S1_LNS_18Fp8KVCacheDataTypeE0EEEvPKT0_PT_PKiS9_iillllPKfS9_
    .private_segment_fixed_size: 0
    .sgpr_count:     42
    .sgpr_spill_count: 0
    .symbol:         _ZN4vllm30gather_and_maybe_dequant_cacheI14__hip_bfloat16S1_LNS_18Fp8KVCacheDataTypeE0EEEvPKT0_PT_PKiS9_iillllPKfS9_.kd
    .uniform_work_group_size: 1
    .uses_dynamic_stack: false
    .vgpr_count:     10
    .vgpr_spill_count: 0
    .wavefront_size: 64
  - .agpr_count:     0
    .args:
      - .actual_access:  read_only
        .address_space:  global
        .offset:         0
        .size:           8
        .value_kind:     global_buffer
      - .actual_access:  write_only
        .address_space:  global
        .offset:         8
        .size:           8
        .value_kind:     global_buffer
      - .actual_access:  read_only
        .address_space:  global
        .offset:         16
        .size:           8
        .value_kind:     global_buffer
      - .actual_access:  read_only
        .address_space:  global
        .offset:         24
        .size:           8
        .value_kind:     global_buffer
      - .offset:         32
        .size:           4
        .value_kind:     by_value
      - .offset:         36
        .size:           4
        .value_kind:     by_value
      - .offset:         40
        .size:           8
        .value_kind:     by_value
      - .offset:         48
        .size:           8
        .value_kind:     by_value
      - .offset:         56
        .size:           8
        .value_kind:     by_value
      - .offset:         64
        .size:           8
        .value_kind:     by_value
      - .actual_access:  read_only
        .address_space:  global
        .offset:         72
        .size:           8
        .value_kind:     global_buffer
      - .actual_access:  read_only
        .address_space:  global
        .offset:         80
        .size:           8
        .value_kind:     global_buffer
      - .offset:         88
        .size:           4
        .value_kind:     hidden_block_count_x
      - .offset:         92
        .size:           4
        .value_kind:     hidden_block_count_y
      - .offset:         96
        .size:           4
        .value_kind:     hidden_block_count_z
      - .offset:         100
        .size:           2
        .value_kind:     hidden_group_size_x
      - .offset:         102
        .size:           2
        .value_kind:     hidden_group_size_y
      - .offset:         104
        .size:           2
        .value_kind:     hidden_group_size_z
      - .offset:         106
        .size:           2
        .value_kind:     hidden_remainder_x
      - .offset:         108
        .size:           2
        .value_kind:     hidden_remainder_y
      - .offset:         110
        .size:           2
        .value_kind:     hidden_remainder_z
      - .offset:         128
        .size:           8
        .value_kind:     hidden_global_offset_x
      - .offset:         136
        .size:           8
        .value_kind:     hidden_global_offset_y
      - .offset:         144
        .size:           8
        .value_kind:     hidden_global_offset_z
      - .offset:         152
        .size:           2
        .value_kind:     hidden_grid_dims
    .group_segment_fixed_size: 0
    .kernarg_segment_align: 8
    .kernarg_segment_size: 344
    .language:       OpenCL C
    .language_version:
      - 2
      - 0
    .max_flat_workgroup_size: 1024
    .name:           _ZN4vllm30gather_and_maybe_dequant_cacheIfhLNS_18Fp8KVCacheDataTypeE1EEEvPKT0_PT_PKiS8_iillllPKfS8_
    .private_segment_fixed_size: 0
    .sgpr_count:     51
    .sgpr_spill_count: 0
    .symbol:         _ZN4vllm30gather_and_maybe_dequant_cacheIfhLNS_18Fp8KVCacheDataTypeE1EEEvPKT0_PT_PKiS8_iillllPKfS8_.kd
    .uniform_work_group_size: 1
    .uses_dynamic_stack: false
    .vgpr_count:     14
    .vgpr_spill_count: 0
    .wavefront_size: 64
  - .agpr_count:     0
    .args:
      - .actual_access:  read_only
        .address_space:  global
        .offset:         0
        .size:           8
        .value_kind:     global_buffer
      - .actual_access:  write_only
        .address_space:  global
        .offset:         8
        .size:           8
        .value_kind:     global_buffer
      - .actual_access:  read_only
        .address_space:  global
        .offset:         16
        .size:           8
        .value_kind:     global_buffer
      - .actual_access:  read_only
        .address_space:  global
        .offset:         24
        .size:           8
        .value_kind:     global_buffer
      - .offset:         32
        .size:           4
        .value_kind:     by_value
      - .offset:         36
        .size:           4
        .value_kind:     by_value
      - .offset:         40
        .size:           8
        .value_kind:     by_value
      - .offset:         48
        .size:           8
        .value_kind:     by_value
      - .offset:         56
        .size:           8
        .value_kind:     by_value
      - .offset:         64
        .size:           8
        .value_kind:     by_value
      - .actual_access:  read_only
        .address_space:  global
        .offset:         72
        .size:           8
        .value_kind:     global_buffer
      - .actual_access:  read_only
        .address_space:  global
        .offset:         80
        .size:           8
        .value_kind:     global_buffer
      - .offset:         88
        .size:           4
        .value_kind:     hidden_block_count_x
      - .offset:         92
        .size:           4
        .value_kind:     hidden_block_count_y
      - .offset:         96
        .size:           4
        .value_kind:     hidden_block_count_z
      - .offset:         100
        .size:           2
        .value_kind:     hidden_group_size_x
      - .offset:         102
        .size:           2
        .value_kind:     hidden_group_size_y
      - .offset:         104
        .size:           2
        .value_kind:     hidden_group_size_z
      - .offset:         106
        .size:           2
        .value_kind:     hidden_remainder_x
      - .offset:         108
        .size:           2
        .value_kind:     hidden_remainder_y
      - .offset:         110
        .size:           2
        .value_kind:     hidden_remainder_z
      - .offset:         128
        .size:           8
        .value_kind:     hidden_global_offset_x
      - .offset:         136
        .size:           8
        .value_kind:     hidden_global_offset_y
      - .offset:         144
        .size:           8
        .value_kind:     hidden_global_offset_z
      - .offset:         152
        .size:           2
        .value_kind:     hidden_grid_dims
    .group_segment_fixed_size: 0
    .kernarg_segment_align: 8
    .kernarg_segment_size: 344
    .language:       OpenCL C
    .language_version:
      - 2
      - 0
    .max_flat_workgroup_size: 1024
    .name:           _ZN4vllm30gather_and_maybe_dequant_cacheIthLNS_18Fp8KVCacheDataTypeE1EEEvPKT0_PT_PKiS8_iillllPKfS8_
    .private_segment_fixed_size: 0
    .sgpr_count:     52
    .sgpr_spill_count: 0
    .symbol:         _ZN4vllm30gather_and_maybe_dequant_cacheIthLNS_18Fp8KVCacheDataTypeE1EEEvPKT0_PT_PKiS8_iillllPKfS8_.kd
    .uniform_work_group_size: 1
    .uses_dynamic_stack: false
    .vgpr_count:     13
    .vgpr_spill_count: 0
    .wavefront_size: 64
  - .agpr_count:     0
    .args:
      - .actual_access:  read_only
        .address_space:  global
        .offset:         0
        .size:           8
        .value_kind:     global_buffer
      - .actual_access:  write_only
        .address_space:  global
        .offset:         8
        .size:           8
        .value_kind:     global_buffer
      - .actual_access:  read_only
        .address_space:  global
        .offset:         16
        .size:           8
        .value_kind:     global_buffer
      - .actual_access:  read_only
        .address_space:  global
        .offset:         24
        .size:           8
        .value_kind:     global_buffer
      - .offset:         32
        .size:           4
        .value_kind:     by_value
      - .offset:         36
        .size:           4
        .value_kind:     by_value
      - .offset:         40
        .size:           8
        .value_kind:     by_value
      - .offset:         48
        .size:           8
        .value_kind:     by_value
      - .offset:         56
        .size:           8
        .value_kind:     by_value
      - .offset:         64
        .size:           8
        .value_kind:     by_value
      - .actual_access:  read_only
        .address_space:  global
        .offset:         72
        .size:           8
        .value_kind:     global_buffer
      - .actual_access:  read_only
        .address_space:  global
        .offset:         80
        .size:           8
        .value_kind:     global_buffer
      - .offset:         88
        .size:           4
        .value_kind:     hidden_block_count_x
      - .offset:         92
        .size:           4
        .value_kind:     hidden_block_count_y
      - .offset:         96
        .size:           4
        .value_kind:     hidden_block_count_z
      - .offset:         100
        .size:           2
        .value_kind:     hidden_group_size_x
      - .offset:         102
        .size:           2
        .value_kind:     hidden_group_size_y
      - .offset:         104
        .size:           2
        .value_kind:     hidden_group_size_z
      - .offset:         106
        .size:           2
        .value_kind:     hidden_remainder_x
      - .offset:         108
        .size:           2
        .value_kind:     hidden_remainder_y
      - .offset:         110
        .size:           2
        .value_kind:     hidden_remainder_z
      - .offset:         128
        .size:           8
        .value_kind:     hidden_global_offset_x
      - .offset:         136
        .size:           8
        .value_kind:     hidden_global_offset_y
      - .offset:         144
        .size:           8
        .value_kind:     hidden_global_offset_z
      - .offset:         152
        .size:           2
        .value_kind:     hidden_grid_dims
    .group_segment_fixed_size: 0
    .kernarg_segment_align: 8
    .kernarg_segment_size: 344
    .language:       OpenCL C
    .language_version:
      - 2
      - 0
    .max_flat_workgroup_size: 1024
    .name:           _ZN4vllm30gather_and_maybe_dequant_cacheI14__hip_bfloat16hLNS_18Fp8KVCacheDataTypeE1EEEvPKT0_PT_PKiS9_iillllPKfS9_
    .private_segment_fixed_size: 0
    .sgpr_count:     53
    .sgpr_spill_count: 0
    .symbol:         _ZN4vllm30gather_and_maybe_dequant_cacheI14__hip_bfloat16hLNS_18Fp8KVCacheDataTypeE1EEEvPKT0_PT_PKiS9_iillllPKfS9_.kd
    .uniform_work_group_size: 1
    .uses_dynamic_stack: false
    .vgpr_count:     15
    .vgpr_spill_count: 0
    .wavefront_size: 64
  - .agpr_count:     0
    .args:
      - .actual_access:  read_only
        .address_space:  global
        .offset:         0
        .size:           8
        .value_kind:     global_buffer
      - .actual_access:  write_only
        .address_space:  global
        .offset:         8
        .size:           8
        .value_kind:     global_buffer
      - .actual_access:  read_only
        .address_space:  global
        .offset:         16
        .size:           8
        .value_kind:     global_buffer
      - .actual_access:  read_only
        .address_space:  global
        .offset:         24
        .size:           8
        .value_kind:     global_buffer
      - .offset:         32
        .size:           4
        .value_kind:     by_value
      - .offset:         36
        .size:           4
        .value_kind:     by_value
      - .offset:         40
        .size:           8
        .value_kind:     by_value
      - .offset:         48
        .size:           8
        .value_kind:     by_value
      - .offset:         56
        .size:           8
        .value_kind:     by_value
      - .offset:         64
        .size:           8
        .value_kind:     by_value
      - .actual_access:  read_only
        .address_space:  global
        .offset:         72
        .size:           8
        .value_kind:     global_buffer
      - .offset:         80
        .size:           4
        .value_kind:     hidden_block_count_x
      - .offset:         84
        .size:           4
        .value_kind:     hidden_block_count_y
      - .offset:         88
        .size:           4
        .value_kind:     hidden_block_count_z
      - .offset:         92
        .size:           2
        .value_kind:     hidden_group_size_x
      - .offset:         94
        .size:           2
        .value_kind:     hidden_group_size_y
      - .offset:         96
        .size:           2
        .value_kind:     hidden_group_size_z
      - .offset:         98
        .size:           2
        .value_kind:     hidden_remainder_x
      - .offset:         100
        .size:           2
        .value_kind:     hidden_remainder_y
      - .offset:         102
        .size:           2
        .value_kind:     hidden_remainder_z
      - .offset:         120
        .size:           8
        .value_kind:     hidden_global_offset_x
      - .offset:         128
        .size:           8
        .value_kind:     hidden_global_offset_y
      - .offset:         136
        .size:           8
        .value_kind:     hidden_global_offset_z
      - .offset:         144
        .size:           2
        .value_kind:     hidden_grid_dims
    .group_segment_fixed_size: 0
    .kernarg_segment_align: 8
    .kernarg_segment_size: 336
    .language:       OpenCL C
    .language_version:
      - 2
      - 0
    .max_flat_workgroup_size: 1024
    .name:           _ZN4vllm15cp_gather_cacheIjEEvPKT_PS1_PKiS6_iillllS6_
    .private_segment_fixed_size: 0
    .sgpr_count:     34
    .sgpr_spill_count: 0
    .symbol:         _ZN4vllm15cp_gather_cacheIjEEvPKT_PS1_PKiS6_iillllS6_.kd
    .uniform_work_group_size: 1
    .uses_dynamic_stack: false
    .vgpr_count:     10
    .vgpr_spill_count: 0
    .wavefront_size: 64
  - .agpr_count:     0
    .args:
      - .actual_access:  read_only
        .address_space:  global
        .offset:         0
        .size:           8
        .value_kind:     global_buffer
      - .actual_access:  write_only
        .address_space:  global
        .offset:         8
        .size:           8
        .value_kind:     global_buffer
      - .actual_access:  read_only
        .address_space:  global
        .offset:         16
        .size:           8
        .value_kind:     global_buffer
      - .actual_access:  read_only
        .address_space:  global
        .offset:         24
        .size:           8
        .value_kind:     global_buffer
      - .offset:         32
        .size:           4
        .value_kind:     by_value
      - .offset:         36
        .size:           4
        .value_kind:     by_value
      - .offset:         40
        .size:           8
        .value_kind:     by_value
      - .offset:         48
        .size:           8
        .value_kind:     by_value
      - .offset:         56
        .size:           8
        .value_kind:     by_value
      - .offset:         64
        .size:           8
        .value_kind:     by_value
      - .actual_access:  read_only
        .address_space:  global
        .offset:         72
        .size:           8
        .value_kind:     global_buffer
      - .offset:         80
        .size:           4
        .value_kind:     hidden_block_count_x
      - .offset:         84
        .size:           4
        .value_kind:     hidden_block_count_y
      - .offset:         88
        .size:           4
        .value_kind:     hidden_block_count_z
      - .offset:         92
        .size:           2
        .value_kind:     hidden_group_size_x
      - .offset:         94
        .size:           2
        .value_kind:     hidden_group_size_y
      - .offset:         96
        .size:           2
        .value_kind:     hidden_group_size_z
      - .offset:         98
        .size:           2
        .value_kind:     hidden_remainder_x
      - .offset:         100
        .size:           2
        .value_kind:     hidden_remainder_y
      - .offset:         102
        .size:           2
        .value_kind:     hidden_remainder_z
      - .offset:         120
        .size:           8
        .value_kind:     hidden_global_offset_x
      - .offset:         128
        .size:           8
        .value_kind:     hidden_global_offset_y
      - .offset:         136
        .size:           8
        .value_kind:     hidden_global_offset_z
      - .offset:         144
        .size:           2
        .value_kind:     hidden_grid_dims
    .group_segment_fixed_size: 0
    .kernarg_segment_align: 8
    .kernarg_segment_size: 336
    .language:       OpenCL C
    .language_version:
      - 2
      - 0
    .max_flat_workgroup_size: 1024
    .name:           _ZN4vllm15cp_gather_cacheItEEvPKT_PS1_PKiS6_iillllS6_
    .private_segment_fixed_size: 0
    .sgpr_count:     34
    .sgpr_spill_count: 0
    .symbol:         _ZN4vllm15cp_gather_cacheItEEvPKT_PS1_PKiS6_iillllS6_.kd
    .uniform_work_group_size: 1
    .uses_dynamic_stack: false
    .vgpr_count:     10
    .vgpr_spill_count: 0
    .wavefront_size: 64
  - .agpr_count:     0
    .args:
      - .actual_access:  read_only
        .address_space:  global
        .offset:         0
        .size:           8
        .value_kind:     global_buffer
      - .actual_access:  write_only
        .address_space:  global
        .offset:         8
        .size:           8
        .value_kind:     global_buffer
      - .actual_access:  read_only
        .address_space:  global
        .offset:         16
        .size:           8
        .value_kind:     global_buffer
      - .actual_access:  read_only
        .address_space:  global
        .offset:         24
        .size:           8
        .value_kind:     global_buffer
      - .offset:         32
        .size:           4
        .value_kind:     by_value
      - .offset:         36
        .size:           4
        .value_kind:     by_value
      - .offset:         40
        .size:           8
        .value_kind:     by_value
      - .offset:         48
        .size:           8
        .value_kind:     by_value
      - .offset:         56
        .size:           8
        .value_kind:     by_value
      - .offset:         64
        .size:           8
        .value_kind:     by_value
      - .actual_access:  read_only
        .address_space:  global
        .offset:         72
        .size:           8
        .value_kind:     global_buffer
      - .offset:         80
        .size:           4
        .value_kind:     hidden_block_count_x
      - .offset:         84
        .size:           4
        .value_kind:     hidden_block_count_y
      - .offset:         88
        .size:           4
        .value_kind:     hidden_block_count_z
      - .offset:         92
        .size:           2
        .value_kind:     hidden_group_size_x
      - .offset:         94
        .size:           2
        .value_kind:     hidden_group_size_y
      - .offset:         96
        .size:           2
        .value_kind:     hidden_group_size_z
      - .offset:         98
        .size:           2
        .value_kind:     hidden_remainder_x
      - .offset:         100
        .size:           2
        .value_kind:     hidden_remainder_y
      - .offset:         102
        .size:           2
        .value_kind:     hidden_remainder_z
      - .offset:         120
        .size:           8
        .value_kind:     hidden_global_offset_x
      - .offset:         128
        .size:           8
        .value_kind:     hidden_global_offset_y
      - .offset:         136
        .size:           8
        .value_kind:     hidden_global_offset_z
      - .offset:         144
        .size:           2
        .value_kind:     hidden_grid_dims
    .group_segment_fixed_size: 0
    .kernarg_segment_align: 8
    .kernarg_segment_size: 336
    .language:       OpenCL C
    .language_version:
      - 2
      - 0
    .max_flat_workgroup_size: 1024
    .name:           _ZN4vllm15cp_gather_cacheIhEEvPKT_PS1_PKiS6_iillllS6_
    .private_segment_fixed_size: 0
    .sgpr_count:     34
    .sgpr_spill_count: 0
    .symbol:         _ZN4vllm15cp_gather_cacheIhEEvPKT_PS1_PKiS6_iillllS6_.kd
    .uniform_work_group_size: 1
    .uses_dynamic_stack: false
    .vgpr_count:     8
    .vgpr_spill_count: 0
    .wavefront_size: 64
amdhsa.target:   amdgcn-amd-amdhsa--gfx90a
amdhsa.version:
  - 1
  - 2
...

	.end_amdgpu_metadata
